;; amdgpu-corpus repo=ROCm/rocFFT kind=compiled arch=gfx1030 opt=O3
	.text
	.amdgcn_target "amdgcn-amd-amdhsa--gfx1030"
	.amdhsa_code_object_version 6
	.protected	fft_rtc_back_len1078_factors_2_11_7_7_wgs_231_tpt_77_halfLds_half_ip_CI_unitstride_sbrr_R2C_dirReg ; -- Begin function fft_rtc_back_len1078_factors_2_11_7_7_wgs_231_tpt_77_halfLds_half_ip_CI_unitstride_sbrr_R2C_dirReg
	.globl	fft_rtc_back_len1078_factors_2_11_7_7_wgs_231_tpt_77_halfLds_half_ip_CI_unitstride_sbrr_R2C_dirReg
	.p2align	8
	.type	fft_rtc_back_len1078_factors_2_11_7_7_wgs_231_tpt_77_halfLds_half_ip_CI_unitstride_sbrr_R2C_dirReg,@function
fft_rtc_back_len1078_factors_2_11_7_7_wgs_231_tpt_77_halfLds_half_ip_CI_unitstride_sbrr_R2C_dirReg: ; @fft_rtc_back_len1078_factors_2_11_7_7_wgs_231_tpt_77_halfLds_half_ip_CI_unitstride_sbrr_R2C_dirReg
; %bb.0:
	s_load_dwordx4 s[8:11], s[4:5], 0x0
	v_mul_u32_u24_e32 v1, 0x354, v0
	s_clause 0x1
	s_load_dwordx2 s[2:3], s[4:5], 0x50
	s_load_dwordx2 s[12:13], s[4:5], 0x18
	v_mov_b32_e32 v5, 0
	v_mov_b32_e32 v3, 0
	;; [unrolled: 1-line block ×3, first 2 shown]
	v_lshrrev_b32_e32 v1, 16, v1
	v_mad_u64_u32 v[1:2], null, s6, 3, v[1:2]
	v_mov_b32_e32 v2, v5
	v_mov_b32_e32 v10, v2
	;; [unrolled: 1-line block ×3, first 2 shown]
	s_waitcnt lgkmcnt(0)
	v_cmp_lt_u64_e64 s0, s[10:11], 2
	s_and_b32 vcc_lo, exec_lo, s0
	s_cbranch_vccnz .LBB0_8
; %bb.1:
	s_load_dwordx2 s[0:1], s[4:5], 0x10
	v_mov_b32_e32 v3, 0
	v_mov_b32_e32 v8, v2
	s_add_u32 s6, s12, 8
	v_mov_b32_e32 v4, 0
	v_mov_b32_e32 v7, v1
	s_addc_u32 s7, s13, 0
	s_mov_b64 s[16:17], 1
	s_waitcnt lgkmcnt(0)
	s_add_u32 s14, s0, 8
	s_addc_u32 s15, s1, 0
.LBB0_2:                                ; =>This Inner Loop Header: Depth=1
	s_load_dwordx2 s[18:19], s[14:15], 0x0
                                        ; implicit-def: $vgpr9_vgpr10
	s_mov_b32 s0, exec_lo
	s_waitcnt lgkmcnt(0)
	v_or_b32_e32 v6, s19, v8
	v_cmpx_ne_u64_e32 0, v[5:6]
	s_xor_b32 s1, exec_lo, s0
	s_cbranch_execz .LBB0_4
; %bb.3:                                ;   in Loop: Header=BB0_2 Depth=1
	v_cvt_f32_u32_e32 v2, s18
	v_cvt_f32_u32_e32 v6, s19
	s_sub_u32 s0, 0, s18
	s_subb_u32 s20, 0, s19
	v_fmac_f32_e32 v2, 0x4f800000, v6
	v_rcp_f32_e32 v2, v2
	v_mul_f32_e32 v2, 0x5f7ffffc, v2
	v_mul_f32_e32 v6, 0x2f800000, v2
	v_trunc_f32_e32 v6, v6
	v_fmac_f32_e32 v2, 0xcf800000, v6
	v_cvt_u32_f32_e32 v6, v6
	v_cvt_u32_f32_e32 v2, v2
	v_mul_lo_u32 v9, s0, v6
	v_mul_hi_u32 v10, s0, v2
	v_mul_lo_u32 v11, s20, v2
	v_add_nc_u32_e32 v9, v10, v9
	v_mul_lo_u32 v10, s0, v2
	v_add_nc_u32_e32 v9, v9, v11
	v_mul_hi_u32 v11, v2, v10
	v_mul_lo_u32 v12, v2, v9
	v_mul_hi_u32 v13, v2, v9
	v_mul_hi_u32 v14, v6, v10
	v_mul_lo_u32 v10, v6, v10
	v_mul_hi_u32 v15, v6, v9
	v_mul_lo_u32 v9, v6, v9
	v_add_co_u32 v11, vcc_lo, v11, v12
	v_add_co_ci_u32_e32 v12, vcc_lo, 0, v13, vcc_lo
	v_add_co_u32 v10, vcc_lo, v11, v10
	v_add_co_ci_u32_e32 v10, vcc_lo, v12, v14, vcc_lo
	v_add_co_ci_u32_e32 v11, vcc_lo, 0, v15, vcc_lo
	v_add_co_u32 v9, vcc_lo, v10, v9
	v_add_co_ci_u32_e32 v10, vcc_lo, 0, v11, vcc_lo
	v_add_co_u32 v2, vcc_lo, v2, v9
	v_add_co_ci_u32_e32 v6, vcc_lo, v6, v10, vcc_lo
	v_mul_hi_u32 v9, s0, v2
	v_mul_lo_u32 v11, s20, v2
	v_mul_lo_u32 v10, s0, v6
	v_add_nc_u32_e32 v9, v9, v10
	v_mul_lo_u32 v10, s0, v2
	v_add_nc_u32_e32 v9, v9, v11
	v_mul_hi_u32 v11, v2, v10
	v_mul_lo_u32 v12, v2, v9
	v_mul_hi_u32 v13, v2, v9
	v_mul_hi_u32 v14, v6, v10
	v_mul_lo_u32 v10, v6, v10
	v_mul_hi_u32 v15, v6, v9
	v_mul_lo_u32 v9, v6, v9
	v_add_co_u32 v11, vcc_lo, v11, v12
	v_add_co_ci_u32_e32 v12, vcc_lo, 0, v13, vcc_lo
	v_add_co_u32 v10, vcc_lo, v11, v10
	v_add_co_ci_u32_e32 v10, vcc_lo, v12, v14, vcc_lo
	v_add_co_ci_u32_e32 v11, vcc_lo, 0, v15, vcc_lo
	v_add_co_u32 v9, vcc_lo, v10, v9
	v_add_co_ci_u32_e32 v10, vcc_lo, 0, v11, vcc_lo
	v_add_co_u32 v2, vcc_lo, v2, v9
	v_add_co_ci_u32_e32 v6, vcc_lo, v6, v10, vcc_lo
	v_mul_hi_u32 v15, v7, v2
	v_mad_u64_u32 v[11:12], null, v8, v2, 0
	v_mad_u64_u32 v[9:10], null, v7, v6, 0
	v_mad_u64_u32 v[13:14], null, v8, v6, 0
	v_add_co_u32 v2, vcc_lo, v15, v9
	v_add_co_ci_u32_e32 v6, vcc_lo, 0, v10, vcc_lo
	v_add_co_u32 v2, vcc_lo, v2, v11
	v_add_co_ci_u32_e32 v2, vcc_lo, v6, v12, vcc_lo
	v_add_co_ci_u32_e32 v6, vcc_lo, 0, v14, vcc_lo
	v_add_co_u32 v2, vcc_lo, v2, v13
	v_add_co_ci_u32_e32 v6, vcc_lo, 0, v6, vcc_lo
	v_mul_lo_u32 v11, s19, v2
	v_mad_u64_u32 v[9:10], null, s18, v2, 0
	v_mul_lo_u32 v12, s18, v6
	v_sub_co_u32 v9, vcc_lo, v7, v9
	v_add3_u32 v10, v10, v12, v11
	v_sub_nc_u32_e32 v11, v8, v10
	v_subrev_co_ci_u32_e64 v11, s0, s19, v11, vcc_lo
	v_add_co_u32 v12, s0, v2, 2
	v_add_co_ci_u32_e64 v13, s0, 0, v6, s0
	v_sub_co_u32 v14, s0, v9, s18
	v_sub_co_ci_u32_e32 v10, vcc_lo, v8, v10, vcc_lo
	v_subrev_co_ci_u32_e64 v11, s0, 0, v11, s0
	v_cmp_le_u32_e32 vcc_lo, s18, v14
	v_cmp_eq_u32_e64 s0, s19, v10
	v_cndmask_b32_e64 v14, 0, -1, vcc_lo
	v_cmp_le_u32_e32 vcc_lo, s19, v11
	v_cndmask_b32_e64 v15, 0, -1, vcc_lo
	v_cmp_le_u32_e32 vcc_lo, s18, v9
	;; [unrolled: 2-line block ×3, first 2 shown]
	v_cndmask_b32_e64 v16, 0, -1, vcc_lo
	v_cmp_eq_u32_e32 vcc_lo, s19, v11
	v_cndmask_b32_e64 v9, v16, v9, s0
	v_cndmask_b32_e32 v11, v15, v14, vcc_lo
	v_add_co_u32 v14, vcc_lo, v2, 1
	v_add_co_ci_u32_e32 v15, vcc_lo, 0, v6, vcc_lo
	v_cmp_ne_u32_e32 vcc_lo, 0, v11
	v_cndmask_b32_e32 v10, v15, v13, vcc_lo
	v_cndmask_b32_e32 v11, v14, v12, vcc_lo
	v_cmp_ne_u32_e32 vcc_lo, 0, v9
	v_cndmask_b32_e32 v10, v6, v10, vcc_lo
	v_cndmask_b32_e32 v9, v2, v11, vcc_lo
.LBB0_4:                                ;   in Loop: Header=BB0_2 Depth=1
	s_andn2_saveexec_b32 s0, s1
	s_cbranch_execz .LBB0_6
; %bb.5:                                ;   in Loop: Header=BB0_2 Depth=1
	v_cvt_f32_u32_e32 v2, s18
	s_sub_i32 s1, 0, s18
	v_rcp_iflag_f32_e32 v2, v2
	v_mul_f32_e32 v2, 0x4f7ffffe, v2
	v_cvt_u32_f32_e32 v2, v2
	v_mul_lo_u32 v6, s1, v2
	v_mul_hi_u32 v6, v2, v6
	v_add_nc_u32_e32 v2, v2, v6
	v_mul_hi_u32 v2, v7, v2
	v_mul_lo_u32 v6, v2, s18
	v_add_nc_u32_e32 v9, 1, v2
	v_sub_nc_u32_e32 v6, v7, v6
	v_subrev_nc_u32_e32 v10, s18, v6
	v_cmp_le_u32_e32 vcc_lo, s18, v6
	v_cndmask_b32_e32 v6, v6, v10, vcc_lo
	v_cndmask_b32_e32 v2, v2, v9, vcc_lo
	v_mov_b32_e32 v10, v5
	v_cmp_le_u32_e32 vcc_lo, s18, v6
	v_add_nc_u32_e32 v9, 1, v2
	v_cndmask_b32_e32 v9, v2, v9, vcc_lo
.LBB0_6:                                ;   in Loop: Header=BB0_2 Depth=1
	s_or_b32 exec_lo, exec_lo, s0
	s_load_dwordx2 s[0:1], s[6:7], 0x0
	v_mul_lo_u32 v2, v10, s18
	v_mul_lo_u32 v6, v9, s19
	v_mad_u64_u32 v[11:12], null, v9, s18, 0
	s_add_u32 s16, s16, 1
	s_addc_u32 s17, s17, 0
	s_add_u32 s6, s6, 8
	s_addc_u32 s7, s7, 0
	;; [unrolled: 2-line block ×3, first 2 shown]
	v_add3_u32 v2, v12, v6, v2
	v_sub_co_u32 v6, vcc_lo, v7, v11
	v_sub_co_ci_u32_e32 v2, vcc_lo, v8, v2, vcc_lo
	s_waitcnt lgkmcnt(0)
	v_mul_lo_u32 v7, s1, v6
	v_mul_lo_u32 v2, s0, v2
	v_mad_u64_u32 v[3:4], null, s0, v6, v[3:4]
	v_cmp_ge_u64_e64 s0, s[16:17], s[10:11]
	s_and_b32 vcc_lo, exec_lo, s0
	v_add3_u32 v4, v7, v4, v2
	s_cbranch_vccnz .LBB0_8
; %bb.7:                                ;   in Loop: Header=BB0_2 Depth=1
	v_mov_b32_e32 v7, v9
	v_mov_b32_e32 v8, v10
	s_branch .LBB0_2
.LBB0_8:
	s_lshl_b64 s[0:1], s[10:11], 3
	v_mul_hi_u32 v2, 0xaaaaaaab, v1
	s_add_u32 s0, s12, s0
	s_addc_u32 s1, s13, s1
	v_mul_hi_u32 v5, 0x3531ded, v0
	s_load_dwordx2 s[0:1], s[0:1], 0x0
	s_load_dwordx2 s[4:5], s[4:5], 0x20
	v_lshrrev_b32_e32 v2, 1, v2
	v_mul_u32_u24_e32 v5, 0x4d, v5
	v_lshl_add_u32 v6, v2, 1, v2
	v_sub_nc_u32_e32 v8, v0, v5
	v_sub_nc_u32_e32 v0, v1, v6
	v_add_nc_u32_e32 v18, 0x4d, v8
	v_add_nc_u32_e32 v16, 0x9a, v8
	;; [unrolled: 1-line block ×3, first 2 shown]
	s_waitcnt lgkmcnt(0)
	v_mul_lo_u32 v5, s0, v10
	v_mul_lo_u32 v7, s1, v9
	v_mad_u64_u32 v[2:3], null, s0, v9, v[3:4]
	v_cmp_gt_u64_e32 vcc_lo, s[4:5], v[9:10]
	v_cmp_le_u64_e64 s0, s[4:5], v[9:10]
	v_add_nc_u32_e32 v12, 0x1ce, v8
	v_add3_u32 v3, v7, v3, v5
	s_and_saveexec_b32 s1, s0
	s_xor_b32 s0, exec_lo, s1
; %bb.9:
	v_add_nc_u32_e32 v18, 0x4d, v8
	v_add_nc_u32_e32 v16, 0x9a, v8
	;; [unrolled: 1-line block ×4, first 2 shown]
; %bb.10:
	s_or_saveexec_b32 s1, s0
	v_mul_u32_u24_e32 v0, 0x437, v0
	v_lshlrev_b64 v[10:11], 2, v[2:3]
	v_lshlrev_b32_e32 v13, 2, v8
	v_lshlrev_b32_e32 v15, 2, v0
	s_xor_b32 exec_lo, exec_lo, s1
	s_cbranch_execz .LBB0_12
; %bb.11:
	v_mov_b32_e32 v9, 0
	v_add_co_u32 v2, s0, s2, v10
	v_add_co_ci_u32_e64 v3, s0, s3, v11, s0
	v_lshlrev_b64 v[0:1], 2, v[8:9]
	v_add_co_u32 v0, s0, v2, v0
	v_add_co_ci_u32_e64 v1, s0, v3, v1, s0
	v_add_co_u32 v2, s0, 0x800, v0
	v_add_co_ci_u32_e64 v3, s0, 0, v1, s0
	s_clause 0xd
	global_load_dword v4, v[0:1], off
	global_load_dword v5, v[0:1], off offset:308
	global_load_dword v6, v[0:1], off offset:616
	;; [unrolled: 1-line block ×13, first 2 shown]
	v_add3_u32 v3, 0, v15, v13
	v_add_nc_u32_e32 v24, 0x400, v3
	v_add_nc_u32_e32 v25, 0x600, v3
	;; [unrolled: 1-line block ×4, first 2 shown]
	s_waitcnt vmcnt(12)
	ds_write2_b32 v3, v4, v5 offset1:77
	s_waitcnt vmcnt(10)
	ds_write2_b32 v3, v6, v7 offset0:154 offset1:231
	s_waitcnt vmcnt(8)
	ds_write2_b32 v24, v9, v17 offset0:52 offset1:129
	;; [unrolled: 2-line block ×6, first 2 shown]
.LBB0_12:
	s_or_b32 exec_lo, exec_lo, s1
	v_add3_u32 v9, 0, v13, v15
	v_add_nc_u32_e32 v42, 0, v15
	s_waitcnt lgkmcnt(0)
	s_barrier
	buffer_gl0_inv
	v_add_nc_u32_e32 v0, 0x800, v9
	v_add_nc_u32_e32 v41, v42, v13
	;; [unrolled: 1-line block ×5, first 2 shown]
	ds_read2_b32 v[4:5], v0 offset0:27 offset1:104
	ds_read_b32 v17, v41
	v_add_nc_u32_e32 v1, 0xa00, v9
	ds_read2_b32 v[6:7], v2 offset0:129 offset1:206
	ds_read2_b32 v[19:20], v27 offset0:79 offset1:156
	ds_read_b32 v28, v9 offset:4004
	ds_read2_b32 v[21:22], v3 offset0:103 offset1:180
	ds_read2_b32 v[23:24], v1 offset0:53 offset1:130
	;; [unrolled: 1-line block ×3, first 2 shown]
	v_lshl_add_u32 v29, v8, 3, v42
	v_lshl_add_u32 v30, v18, 3, v42
	v_lshl_add_u32 v31, v16, 3, v42
	v_lshl_add_u32 v32, v14, 3, v42
	v_lshl_add_u32 v33, v12, 3, v42
	v_add_nc_u32_e32 v34, 0x738, v29
	s_waitcnt lgkmcnt(0)
	s_barrier
	buffer_gl0_inv
	v_add_nc_u32_e32 v37, 0xc08, v29
	v_cmp_gt_u32_e64 s0, 21, v8
                                        ; implicit-def: $vgpr47
                                        ; implicit-def: $vgpr46
                                        ; implicit-def: $vgpr45
                                        ; implicit-def: $vgpr52
                                        ; implicit-def: $vgpr51
                                        ; implicit-def: $vgpr50
                                        ; implicit-def: $vgpr49
                                        ; implicit-def: $vgpr48
	v_pk_add_f16 v43, v6, v20 neg_lo:[0,1] neg_hi:[0,1]
	v_pk_add_f16 v4, v17, v4 neg_lo:[0,1] neg_hi:[0,1]
	v_lshrrev_b32_e32 v35, 16, v17
	v_pk_add_f16 v20, v7, v28 neg_lo:[0,1] neg_hi:[0,1]
	v_pk_add_f16 v24, v21, v24 neg_lo:[0,1] neg_hi:[0,1]
	;; [unrolled: 1-line block ×3, first 2 shown]
	v_lshrrev_b32_e32 v36, 16, v4
	v_fma_f16 v17, v17, 2.0, -v4
	v_pk_add_f16 v23, v26, v23 neg_lo:[0,1] neg_hi:[0,1]
	v_pk_add_f16 v28, v22, v19 neg_lo:[0,1] neg_hi:[0,1]
	v_pk_fma_f16 v19, v7, 2.0, v20 op_sel_hi:[1,0,1] neg_lo:[0,0,1] neg_hi:[0,0,1]
	v_fma_f16 v35, v35, 2.0, -v36
	v_pk_fma_f16 v7, v21, 2.0, v24 op_sel_hi:[1,0,1] neg_lo:[0,0,1] neg_hi:[0,0,1]
	v_pk_fma_f16 v21, v25, 2.0, v5 op_sel_hi:[1,0,1] neg_lo:[0,0,1] neg_hi:[0,0,1]
	;; [unrolled: 1-line block ×4, first 2 shown]
	v_lshlrev_b32_e32 v35, 16, v35
	v_pk_fma_f16 v6, v6, 2.0, v43 op_sel_hi:[1,0,1] neg_lo:[0,0,1] neg_hi:[0,0,1]
	v_lshrrev_b32_e32 v44, 16, v20
                                        ; implicit-def: $vgpr26
	v_or_b32_sdwa v17, v35, v17 dst_sel:DWORD dst_unused:UNUSED_PAD src0_sel:DWORD src1_sel:WORD_0
	ds_write2_b32 v29, v17, v4 offset1:1
	ds_write2_b32 v30, v21, v5 offset1:1
	;; [unrolled: 1-line block ×7, first 2 shown]
	v_add_nc_u32_e32 v4, 0x600, v9
	s_waitcnt lgkmcnt(0)
	s_barrier
	buffer_gl0_inv
	ds_read_b32 v53, v41
	ds_read2_b32 v[37:38], v9 offset0:98 offset1:196
	ds_read2_b32 v[35:36], v2 offset0:38 offset1:136
	;; [unrolled: 1-line block ×5, first 2 shown]
	v_lshlrev_b32_e32 v17, 2, v18
                                        ; implicit-def: $vgpr21
                                        ; implicit-def: $vgpr23
                                        ; implicit-def: $vgpr28
	s_and_saveexec_b32 s1, s0
	s_cbranch_execz .LBB0_14
; %bb.13:
	ds_read2_b32 v[19:20], v3 offset0:47 offset1:145
	ds_read2_b32 v[21:22], v2 offset0:115 offset1:213
	v_add_nc_u32_e32 v2, 0xe00, v9
	ds_read2_b32 v[23:24], v0 offset0:55 offset1:153
	ds_read2_b32 v[25:26], v1 offset0:123 offset1:221
	;; [unrolled: 1-line block ×3, first 2 shown]
	v_add3_u32 v0, 0, v17, v15
	ds_read_b32 v43, v0
	s_waitcnt lgkmcnt(5)
	v_lshrrev_b32_e32 v44, 16, v20
	s_waitcnt lgkmcnt(4)
	v_lshrrev_b32_e32 v47, 16, v21
	v_lshrrev_b32_e32 v46, 16, v22
	s_waitcnt lgkmcnt(3)
	v_lshrrev_b32_e32 v45, 16, v23
	;; [unrolled: 3-line block ×4, first 2 shown]
	v_lshrrev_b32_e32 v52, 16, v28
.LBB0_14:
	s_or_b32 exec_lo, exec_lo, s1
	v_and_b32_e32 v54, 1, v8
	s_waitcnt lgkmcnt(4)
	v_lshrrev_b32_e32 v58, 16, v37
	v_lshrrev_b32_e32 v55, 1, v8
	s_waitcnt lgkmcnt(0)
	v_lshrrev_b32_e32 v56, 16, v31
	v_lshrrev_b32_e32 v57, 16, v32
	v_mul_u32_u24_e32 v0, 10, v54
	v_lshrrev_b32_e32 v59, 16, v38
	v_lshrrev_b32_e32 v64, 16, v30
	v_mul_u32_u24_e32 v55, 22, v55
	v_lshrrev_b32_e32 v63, 16, v29
	v_lshlrev_b32_e32 v39, 2, v0
	v_lshrrev_b32_e32 v60, 16, v35
	v_lshrrev_b32_e32 v61, 16, v33
	v_or_b32_e32 v54, v55, v54
	v_lshrrev_b32_e32 v55, 16, v36
	s_clause 0x2
	global_load_dwordx4 v[0:3], v39, s[8:9]
	global_load_dwordx4 v[4:7], v39, s[8:9] offset:16
	global_load_dwordx2 v[39:40], v39, s[8:9] offset:32
	v_lshrrev_b32_e32 v62, 16, v34
	s_waitcnt vmcnt(0)
	v_lshlrev_b32_e32 v54, 2, v54
	s_barrier
	buffer_gl0_inv
	v_add3_u32 v54, 0, v54, v15
	v_mul_f16_sdwa v65, v0, v58 dst_sel:DWORD dst_unused:UNUSED_PAD src0_sel:WORD_1 src1_sel:DWORD
	v_mul_f16_sdwa v66, v0, v37 dst_sel:DWORD dst_unused:UNUSED_PAD src0_sel:WORD_1 src1_sel:DWORD
	;; [unrolled: 1-line block ×5, first 2 shown]
	v_mul_f16_sdwa v81, v56, v39 dst_sel:DWORD dst_unused:UNUSED_PAD src0_sel:DWORD src1_sel:WORD_1
	v_mul_f16_sdwa v82, v31, v39 dst_sel:DWORD dst_unused:UNUSED_PAD src0_sel:DWORD src1_sel:WORD_1
	;; [unrolled: 1-line block ×3, first 2 shown]
	v_fmac_f16_e32 v65, v0, v37
	v_fma_f16 v0, v0, v58, -v66
	v_mul_f16_sdwa v77, v6, v63 dst_sel:DWORD dst_unused:UNUSED_PAD src0_sel:WORD_1 src1_sel:DWORD
	v_mul_f16_sdwa v84, v32, v40 dst_sel:DWORD dst_unused:UNUSED_PAD src0_sel:DWORD src1_sel:WORD_1
	v_mul_f16_sdwa v69, v2, v60 dst_sel:DWORD dst_unused:UNUSED_PAD src0_sel:WORD_1 src1_sel:DWORD
	v_mul_f16_sdwa v70, v2, v35 dst_sel:DWORD dst_unused:UNUSED_PAD src0_sel:WORD_1 src1_sel:DWORD
	;; [unrolled: 1-line block ×3, first 2 shown]
	v_fmac_f16_e32 v67, v1, v38
	v_fma_f16 v1, v1, v59, -v68
	v_fmac_f16_e32 v79, v7, v30
	v_fmac_f16_e32 v81, v31, v39
	;; [unrolled: 1-line block ×3, first 2 shown]
	v_fma_f16 v30, v56, v39, -v82
	v_add_f16_e32 v31, v65, v53
	v_add_f16_sdwa v32, v0, v53 dst_sel:DWORD dst_unused:UNUSED_PAD src0_sel:DWORD src1_sel:WORD_1
	v_mul_f16_sdwa v71, v3, v55 dst_sel:DWORD dst_unused:UNUSED_PAD src0_sel:WORD_1 src1_sel:DWORD
	v_mul_f16_sdwa v72, v3, v36 dst_sel:DWORD dst_unused:UNUSED_PAD src0_sel:WORD_1 src1_sel:DWORD
	;; [unrolled: 1-line block ×7, first 2 shown]
	v_fmac_f16_e32 v77, v6, v29
	v_fma_f16 v29, v57, v40, -v84
	v_fmac_f16_e32 v69, v2, v35
	v_fma_f16 v2, v2, v60, -v70
	v_fma_f16 v7, v7, v64, -v80
	v_add_f16_e32 v37, v1, v30
	v_sub_f16_e32 v39, v1, v30
	v_add_f16_e32 v31, v31, v67
	v_add_f16_e32 v1, v32, v1
	v_fmac_f16_e32 v71, v3, v36
	v_fma_f16 v3, v3, v55, -v72
	v_fmac_f16_e32 v73, v4, v33
	v_fma_f16 v4, v4, v61, -v74
	;; [unrolled: 2-line block ×3, first 2 shown]
	v_fma_f16 v6, v6, v63, -v78
	v_add_f16_e32 v34, v0, v29
	v_sub_f16_e32 v0, v0, v29
	v_sub_f16_e32 v40, v2, v7
	v_add_f16_e32 v56, v2, v7
	v_add_f16_e32 v1, v1, v2
	;; [unrolled: 1-line block ×4, first 2 shown]
	v_sub_f16_e32 v35, v65, v83
	v_add_f16_e32 v36, v67, v81
	v_sub_f16_e32 v38, v67, v81
	v_sub_f16_e32 v58, v3, v6
	v_add_f16_e32 v60, v3, v6
	v_sub_f16_e32 v62, v4, v5
	v_add_f16_e32 v64, v4, v5
	v_mul_f16_e32 v32, 0xb853, v0
	v_mul_f16_e32 v66, 0x3abb, v34
	;; [unrolled: 1-line block ×10, first 2 shown]
	v_add_f16_e32 v2, v2, v71
	v_add_f16_e32 v1, v1, v3
	;; [unrolled: 1-line block ×3, first 2 shown]
	v_sub_f16_e32 v57, v69, v79
	v_add_f16_e32 v59, v71, v77
	v_sub_f16_e32 v61, v71, v77
	v_add_f16_e32 v63, v73, v75
	v_sub_f16_e32 v65, v73, v75
	v_mul_f16_e32 v78, 0xbb47, v39
	v_mul_f16_e32 v80, 0x36a6, v37
	v_mul_f16_e32 v82, 0xba0c, v39
	v_mul_f16_e32 v84, 0xb93d, v37
	v_mul_f16_e32 v85, 0x3482, v39
	v_mul_f16_e32 v86, 0xbbad, v37
	v_mul_f16_e32 v87, 0x3beb, v39
	v_mul_f16_e32 v88, 0xb08e, v37
	v_mul_f16_e32 v39, 0x3853, v39
	v_mul_f16_e32 v37, 0x3abb, v37
	v_mul_f16_e32 v89, 0xbbeb, v40
	v_mul_f16_e32 v90, 0x3482, v40
	v_mul_f16_e32 v91, 0x3b47, v40
	v_mul_f16_e32 v92, 0xb853, v40
	v_mul_f16_e32 v40, 0xba0c, v40
	v_mul_f16_e32 v93, 0xb08e, v56
	v_mul_f16_e32 v94, 0xbbad, v56
	v_mul_f16_e32 v95, 0x36a6, v56
	v_mul_f16_e32 v96, 0x3abb, v56
	v_mul_f16_e32 v56, 0xb93d, v56
	v_mul_f16_e32 v97, 0xba0c, v58
	v_mul_f16_e32 v98, 0x3beb, v58
	v_mul_f16_e32 v99, 0xb853, v58
	v_mul_f16_e32 v100, 0xb482, v58
	v_mul_f16_e32 v58, 0x3b47, v58
	v_mul_f16_e32 v101, 0xb93d, v60
	v_mul_f16_e32 v102, 0xb08e, v60
	v_mul_f16_e32 v103, 0x3abb, v60
	v_mul_f16_e32 v104, 0xbbad, v60
	v_mul_f16_e32 v60, 0x36a6, v60
	v_mul_f16_e32 v105, 0xb482, v62
	v_mul_f16_e32 v106, 0x3853, v62
	v_mul_f16_e32 v107, 0xba0c, v62
	v_mul_f16_e32 v108, 0x3b47, v62
	v_mul_f16_e32 v62, 0xbbeb, v62
	v_mul_f16_e32 v109, 0xbbad, v64
	v_mul_f16_e32 v110, 0x3abb, v64
	v_mul_f16_e32 v111, 0xb93d, v64
	v_mul_f16_e32 v112, 0x36a6, v64
	v_mul_f16_e32 v64, 0xb08e, v64
	v_fmamk_f16 v113, v33, 0x3abb, v32
	v_fmamk_f16 v114, v35, 0x3853, v66
	v_fma_f16 v32, v33, 0x3abb, -v32
	v_fmac_f16_e32 v66, 0xb853, v35
	v_fmamk_f16 v115, v33, 0x36a6, v67
	v_fmamk_f16 v116, v35, 0x3b47, v68
	v_fma_f16 v67, v33, 0x36a6, -v67
	v_fmac_f16_e32 v68, 0xbb47, v35
	;; [unrolled: 4-line block ×5, first 2 shown]
	v_add_f16_e32 v2, v2, v73
	v_add_f16_e32 v1, v1, v4
	v_fmamk_f16 v33, v36, 0x36a6, v78
	v_fma_f16 v35, v36, 0x36a6, -v78
	v_fmamk_f16 v78, v36, 0xb93d, v82
	v_fma_f16 v82, v36, 0xb93d, -v82
	v_fmamk_f16 v123, v36, 0xbbad, v85
	v_fma_f16 v85, v36, 0xbbad, -v85
	v_fmamk_f16 v124, v36, 0xb08e, v87
	v_fma_f16 v87, v36, 0xb08e, -v87
	v_fmamk_f16 v125, v36, 0x3abb, v39
	v_fma_f16 v36, v36, 0x3abb, -v39
	v_fmamk_f16 v39, v38, 0x3b47, v80
	v_fmac_f16_e32 v80, 0xbb47, v38
	v_fmamk_f16 v126, v38, 0x3a0c, v84
	v_fmac_f16_e32 v84, 0xba0c, v38
	v_fmamk_f16 v127, v38, 0xb482, v86
	v_fmac_f16_e32 v86, 0x3482, v38
	v_fmamk_f16 v128, v38, 0xbbeb, v88
	v_fmac_f16_e32 v88, 0x3beb, v38
	v_fmamk_f16 v129, v38, 0xb853, v37
	v_fmac_f16_e32 v37, 0x3853, v38
	v_fmamk_f16 v38, v55, 0xb08e, v89
	v_fma_f16 v89, v55, 0xb08e, -v89
	v_fmamk_f16 v130, v55, 0xbbad, v90
	v_fma_f16 v90, v55, 0xbbad, -v90
	v_fmamk_f16 v131, v55, 0x36a6, v91
	v_fma_f16 v91, v55, 0x36a6, -v91
	v_fmamk_f16 v132, v55, 0x3abb, v92
	v_fma_f16 v92, v55, 0x3abb, -v92
	v_fmamk_f16 v133, v55, 0xb93d, v40
	v_fma_f16 v40, v55, 0xb93d, -v40
	v_fmamk_f16 v31, v57, 0x3beb, v93
	v_fmac_f16_e32 v93, 0xbbeb, v57
	v_fmamk_f16 v55, v57, 0xb482, v94
	v_fmac_f16_e32 v94, 0x3482, v57
	v_fmamk_f16 v69, v57, 0xbb47, v95
	v_fmac_f16_e32 v95, 0x3b47, v57
	v_fmamk_f16 v134, v57, 0x3853, v96
	v_fmac_f16_e32 v96, 0xb853, v57
	v_fmamk_f16 v135, v57, 0x3a0c, v56
	v_fmac_f16_e32 v56, 0xba0c, v57
	;; [unrolled: 20-line block ×4, first 2 shown]
	v_add_f16_e32 v3, v113, v53
	v_add_f16_sdwa v65, v114, v53 dst_sel:DWORD dst_unused:UNUSED_PAD src0_sel:DWORD src1_sel:WORD_1
	v_add_f16_e32 v32, v32, v53
	v_add_f16_sdwa v66, v66, v53 dst_sel:DWORD dst_unused:UNUSED_PAD src0_sel:DWORD src1_sel:WORD_1
	v_add_f16_e32 v71, v115, v53
	v_add_f16_sdwa v113, v116, v53 dst_sel:DWORD dst_unused:UNUSED_PAD src0_sel:DWORD src1_sel:WORD_1
	v_add_f16_e32 v67, v67, v53
	v_add_f16_sdwa v68, v68, v53 dst_sel:DWORD dst_unused:UNUSED_PAD src0_sel:DWORD src1_sel:WORD_1
	v_add_f16_e32 v114, v117, v53
	v_add_f16_sdwa v115, v118, v53 dst_sel:DWORD dst_unused:UNUSED_PAD src0_sel:DWORD src1_sel:WORD_1
	v_add_f16_e32 v70, v70, v53
	v_add_f16_sdwa v72, v72, v53 dst_sel:DWORD dst_unused:UNUSED_PAD src0_sel:DWORD src1_sel:WORD_1
	v_add_f16_e32 v116, v119, v53
	v_add_f16_sdwa v117, v120, v53 dst_sel:DWORD dst_unused:UNUSED_PAD src0_sel:DWORD src1_sel:WORD_1
	v_add_f16_e32 v74, v74, v53
	v_add_f16_sdwa v76, v76, v53 dst_sel:DWORD dst_unused:UNUSED_PAD src0_sel:DWORD src1_sel:WORD_1
	v_add_f16_e32 v118, v121, v53
	v_add_f16_sdwa v119, v122, v53 dst_sel:DWORD dst_unused:UNUSED_PAD src0_sel:DWORD src1_sel:WORD_1
	v_add_f16_e32 v0, v0, v53
	v_add_f16_sdwa v34, v34, v53 dst_sel:DWORD dst_unused:UNUSED_PAD src0_sel:DWORD src1_sel:WORD_1
	v_add_f16_e32 v2, v2, v75
	v_add_f16_e32 v1, v1, v5
	v_add_f16_e32 v3, v33, v3
	v_add_f16_e32 v4, v39, v65
	v_add_f16_e32 v32, v35, v32
	v_add_f16_e32 v33, v80, v66
	v_add_f16_e32 v35, v78, v71
	v_add_f16_e32 v39, v126, v113
	v_add_f16_e32 v53, v82, v67
	v_add_f16_e32 v65, v84, v68
	v_add_f16_e32 v66, v123, v114
	v_add_f16_e32 v67, v127, v115
	v_add_f16_e32 v68, v85, v70
	v_add_f16_e32 v70, v86, v72
	v_add_f16_e32 v71, v124, v116
	v_add_f16_e32 v72, v128, v117
	v_add_f16_e32 v73, v87, v74
	v_add_f16_e32 v74, v88, v76
	v_add_f16_e32 v76, v125, v118
	v_add_f16_e32 v78, v129, v119
	v_add_f16_e32 v0, v36, v0
	v_add_f16_e32 v34, v37, v34
	v_add_f16_e32 v2, v2, v77
	v_add_f16_e32 v1, v1, v6
	v_add_f16_e32 v3, v38, v3
	v_add_f16_e32 v4, v31, v4
	v_add_f16_e32 v5, v89, v32
	v_add_f16_e32 v31, v93, v33
	v_add_f16_e32 v32, v130, v35
	v_add_f16_e32 v33, v55, v39
	v_add_f16_e32 v35, v90, v53
	v_add_f16_e32 v36, v94, v65
	v_add_f16_e32 v37, v131, v66
	v_add_f16_e32 v38, v69, v67
	v_add_f16_e32 v39, v91, v68
	v_add_f16_e32 v53, v95, v70
	v_add_f16_e32 v55, v132, v71
	v_add_f16_e32 v65, v134, v72
	v_add_f16_e32 v66, v92, v73
	v_add_f16_e32 v67, v96, v74
	v_add_f16_e32 v68, v133, v76
	v_add_f16_e32 v69, v135, v78
	v_add_f16_e32 v0, v40, v0
	v_add_f16_e32 v34, v56, v34
	v_add_f16_e32 v2, v2, v79
	v_add_f16_e32 v1, v1, v7
	v_add_f16_e32 v3, v57, v3
	v_add_f16_e32 v4, v59, v4
	v_add_f16_e32 v6, v101, v31
	v_add_f16_e32 v31, v136, v32
	v_add_f16_e32 v32, v140, v33
	v_add_f16_e32 v33, v98, v35
	v_add_f16_e32 v35, v102, v36
	v_add_f16_e32 v36, v137, v37
	v_add_f16_e32 v37, v141, v38
	v_add_f16_e32 v38, v99, v39
	v_add_f16_e32 v39, v103, v53
	v_add_f16_e32 v40, v138, v55
	v_add_f16_e32 v53, v142, v65
	v_add_f16_e32 v55, v100, v66
	v_add_f16_e32 v56, v104, v67
	v_add_f16_e32 v57, v139, v68
	v_add_f16_e32 v59, v143, v69
	v_add_f16_e32 v0, v58, v0
	v_add_f16_e32 v34, v60, v34
	v_add_f16_e32 v2, v2, v81
	v_add_f16_e32 v1, v1, v30
	v_add_f16_e32 v5, v97, v5
	v_add_f16_e32 v3, v61, v3
	v_add_f16_e32 v4, v63, v4
	v_add_f16_e32 v7, v144, v31
	v_add_f16_e32 v31, v148, v32
	v_add_f16_e32 v32, v106, v33
	v_add_f16_e32 v33, v110, v35
	v_add_f16_e32 v35, v145, v36
	v_add_f16_e32 v36, v149, v37
	v_add_f16_e32 v37, v107, v38
	v_add_f16_e32 v38, v111, v39
	v_add_f16_e32 v39, v146, v40
	v_add_f16_e32 v40, v150, v53
	v_add_f16_e32 v53, v108, v55
	v_add_f16_e32 v55, v112, v56
	v_add_f16_e32 v56, v147, v57
	v_add_f16_e32 v57, v151, v59
	v_add_f16_e32 v0, v62, v0
	v_add_f16_e32 v34, v64, v34
	v_add_f16_e32 v2, v2, v83
	v_add_f16_sdwa v1, v1, v29 dst_sel:WORD_1 dst_unused:UNUSED_PAD src0_sel:DWORD src1_sel:DWORD
	v_add_f16_e32 v5, v105, v5
	v_add_f16_e32 v6, v109, v6
	v_pack_b32_f16 v3, v3, v4
	v_pack_b32_f16 v4, v7, v31
	;; [unrolled: 1-line block ×9, first 2 shown]
	v_or_b32_sdwa v1, v1, v2 dst_sel:DWORD dst_unused:UNUSED_PAD src0_sel:DWORD src1_sel:WORD_0
	v_pack_b32_f16 v5, v5, v6
	ds_write2_b32 v54, v4, v7 offset0:4 offset1:6
	ds_write2_b32 v54, v30, v31 offset0:8 offset1:10
	;; [unrolled: 1-line block ×4, first 2 shown]
	ds_write2_b32 v54, v1, v3 offset1:2
	ds_write_b32 v54, v5 offset:80
	s_and_saveexec_b32 s1, s0
	s_cbranch_execz .LBB0_16
; %bb.15:
	v_and_b32_e32 v31, 1, v18
	v_lshrrev_b32_e32 v32, 1, v18
	v_mul_u32_u24_e32 v0, 10, v31
	v_mul_lo_u32 v32, v32, 22
	v_lshlrev_b32_e32 v4, 2, v0
	s_clause 0x2
	global_load_dwordx2 v[29:30], v4, s[8:9] offset:32
	global_load_dwordx4 v[0:3], v4, s[8:9]
	global_load_dwordx4 v[4:7], v4, s[8:9] offset:16
	v_or_b32_e32 v31, v32, v31
	v_lshrrev_b32_e32 v32, 16, v19
	v_lshlrev_b32_e32 v31, 2, v31
	v_add3_u32 v31, 0, v31, v15
	s_waitcnt vmcnt(2)
	v_mul_f16_sdwa v33, v28, v30 dst_sel:DWORD dst_unused:UNUSED_PAD src0_sel:DWORD src1_sel:WORD_1
	s_waitcnt vmcnt(1)
	v_mul_f16_sdwa v34, v19, v0 dst_sel:DWORD dst_unused:UNUSED_PAD src0_sel:DWORD src1_sel:WORD_1
	v_mul_f16_sdwa v35, v32, v0 dst_sel:DWORD dst_unused:UNUSED_PAD src0_sel:DWORD src1_sel:WORD_1
	;; [unrolled: 1-line block ×7, first 2 shown]
	s_waitcnt vmcnt(0)
	v_mul_f16_sdwa v53, v26, v7 dst_sel:DWORD dst_unused:UNUSED_PAD src0_sel:DWORD src1_sel:WORD_1
	v_mul_f16_sdwa v54, v21, v2 dst_sel:DWORD dst_unused:UNUSED_PAD src0_sel:DWORD src1_sel:WORD_1
	;; [unrolled: 1-line block ×12, first 2 shown]
	v_fma_f16 v33, v52, v30, -v33
	v_fma_f16 v32, v32, v0, -v34
	v_fmac_f16_e32 v35, v19, v0
	v_fmac_f16_e32 v36, v28, v30
	v_fma_f16 v0, v51, v29, -v37
	v_fma_f16 v19, v44, v1, -v38
	v_fmac_f16_e32 v39, v20, v1
	v_fmac_f16_e32 v40, v27, v29
	v_fma_f16 v1, v50, v7, -v53
	v_fma_f16 v20, v47, v2, -v54
	v_fmac_f16_e32 v55, v21, v2
	v_fmac_f16_e32 v56, v26, v7
	v_fma_f16 v2, v49, v6, -v57
	v_fma_f16 v7, v46, v3, -v58
	v_fmac_f16_e32 v59, v22, v3
	v_fmac_f16_e32 v60, v25, v6
	v_fma_f16 v3, v48, v5, -v61
	v_fma_f16 v6, v45, v4, -v62
	v_fmac_f16_e32 v63, v23, v4
	v_fmac_f16_e32 v64, v24, v5
	v_add_f16_e32 v4, v32, v33
	v_sub_f16_e32 v5, v35, v36
	v_add_f16_e32 v29, v35, v36
	v_sub_f16_e32 v30, v32, v33
	v_add_f16_e32 v35, v43, v35
	v_add_f16_sdwa v32, v43, v32 dst_sel:DWORD dst_unused:UNUSED_PAD src0_sel:WORD_1 src1_sel:DWORD
	v_add_f16_e32 v21, v19, v0
	v_sub_f16_e32 v37, v19, v0
	v_sub_f16_e32 v46, v7, v2
	v_add_f16_e32 v35, v35, v39
	v_add_f16_e32 v19, v32, v19
	v_sub_f16_e32 v44, v20, v1
	v_sub_f16_e32 v48, v6, v3
	v_mul_f16_e32 v49, 0xbbad, v4
	v_mul_f16_e32 v54, 0xb482, v30
	;; [unrolled: 1-line block ×6, first 2 shown]
	v_add_f16_e32 v35, v35, v55
	v_add_f16_e32 v19, v19, v20
	;; [unrolled: 1-line block ×4, first 2 shown]
	v_mul_f16_e32 v70, 0xba0c, v30
	v_mul_f16_e32 v80, 0xbbeb, v30
	;; [unrolled: 1-line block ×3, first 2 shown]
	v_add_f16_e32 v27, v6, v3
	v_add_f16_e32 v34, v39, v40
	;; [unrolled: 1-line block ×3, first 2 shown]
	v_mul_f16_e32 v57, 0x3853, v37
	v_mul_f16_e32 v61, 0x3b47, v46
	v_add_f16_e32 v38, v55, v56
	v_add_f16_e32 v47, v63, v64
	v_mul_f16_e32 v58, 0xba0c, v44
	v_mul_f16_e32 v62, 0xbbeb, v48
	;; [unrolled: 1-line block ×9, first 2 shown]
	v_sub_f16_e32 v22, v39, v40
	v_mul_f16_e32 v50, 0x3abb, v21
	v_mul_f16_e32 v66, 0xb08e, v21
	;; [unrolled: 1-line block ×5, first 2 shown]
	v_fmamk_f16 v32, v5, 0x3482, v49
	v_fmamk_f16 v133, v5, 0x3853, v4
	v_fmac_f16_e32 v49, 0xb482, v5
	v_fma_f16 v20, v29, 0xbbad, -v54
	v_fmac_f16_e32 v4, 0xb853, v5
	v_add_f16_e32 v35, v35, v59
	v_add_f16_e32 v7, v19, v7
	v_sub_f16_e32 v24, v55, v56
	v_sub_f16_e32 v26, v59, v60
	v_mul_f16_e32 v51, 0xb93d, v23
	v_mul_f16_e32 v52, 0x36a6, v25
	;; [unrolled: 1-line block ×18, first 2 shown]
	v_fmamk_f16 v98, v29, 0xbbad, v54
	v_fmamk_f16 v103, v5, 0x3a0c, v65
	;; [unrolled: 1-line block ×7, first 2 shown]
	v_sub_f16_e32 v28, v63, v64
	v_mul_f16_e32 v53, 0xb08e, v27
	v_mul_f16_e32 v69, 0x36a6, v27
	;; [unrolled: 1-line block ×7, first 2 shown]
	v_fmamk_f16 v99, v34, 0x3abb, v57
	v_fmamk_f16 v101, v45, 0x36a6, v61
	v_fma_f16 v54, v34, 0x3abb, -v57
	v_fma_f16 v57, v45, 0x36a6, -v61
	v_fmac_f16_e32 v65, 0xba0c, v5
	v_fma_f16 v61, v29, 0xb93d, -v70
	v_fmamk_f16 v100, v38, 0xb93d, v58
	v_fmamk_f16 v102, v47, 0xb08e, v62
	;; [unrolled: 1-line block ×9, first 2 shown]
	v_fma_f16 v55, v38, 0xb93d, -v58
	v_fma_f16 v58, v47, 0xb08e, -v62
	;; [unrolled: 1-line block ×6, first 2 shown]
	v_fmac_f16_e32 v75, 0xbbeb, v5
	v_fma_f16 v73, v29, 0xb08e, -v80
	v_fma_f16 v74, v34, 0xbbad, -v81
	;; [unrolled: 1-line block ×3, first 2 shown]
	v_fmac_f16_e32 v85, 0xbb47, v5
	v_fma_f16 v83, v29, 0x36a6, -v90
	v_fmamk_f16 v39, v22, 0xb853, v50
	v_fmamk_f16 v134, v22, 0x3b47, v21
	v_fmac_f16_e32 v50, 0x3853, v22
	v_fmac_f16_e32 v21, 0xbb47, v22
	v_add_f16_sdwa v19, v43, v49 dst_sel:DWORD dst_unused:UNUSED_PAD src0_sel:WORD_1 src1_sel:DWORD
	v_add_f16_e32 v20, v43, v20
	v_add_f16_sdwa v4, v43, v4 dst_sel:DWORD dst_unused:UNUSED_PAD src0_sel:WORD_1 src1_sel:DWORD
	v_add_f16_e32 v35, v35, v63
	v_add_f16_e32 v6, v7, v6
	v_fmamk_f16 v95, v24, 0x3a0c, v51
	v_fmamk_f16 v96, v26, 0xbb47, v52
	;; [unrolled: 1-line block ×21, first 2 shown]
	v_fmac_f16_e32 v51, 0xba0c, v24
	v_fmac_f16_e32 v52, 0x3b47, v26
	;; [unrolled: 1-line block ×8, first 2 shown]
	v_fma_f16 v80, v38, 0x36a6, -v82
	v_fma_f16 v82, v47, 0xb93d, -v84
	v_fmac_f16_e32 v86, 0xba0c, v22
	v_fmac_f16_e32 v87, 0x3482, v24
	v_fmac_f16_e32 v88, 0x3beb, v26
	v_fma_f16 v84, v34, 0xb93d, -v91
	v_fma_f16 v90, v38, 0xbbad, -v92
	;; [unrolled: 1-line block ×3, first 2 shown]
	v_fmac_f16_e32 v23, 0xbbeb, v24
	v_fmac_f16_e32 v25, 0xba0c, v26
	v_fma_f16 v5, v29, 0x3abb, -v30
	v_fma_f16 v22, v34, 0x36a6, -v37
	;; [unrolled: 1-line block ×4, first 2 shown]
	v_add_f16_sdwa v29, v43, v32 dst_sel:DWORD dst_unused:UNUSED_PAD src0_sel:WORD_1 src1_sel:DWORD
	v_add_f16_e32 v30, v43, v98
	v_add_f16_sdwa v32, v43, v103 dst_sel:DWORD dst_unused:UNUSED_PAD src0_sel:WORD_1 src1_sel:DWORD
	v_add_f16_e32 v34, v43, v108
	v_add_f16_sdwa v37, v43, v113 dst_sel:DWORD dst_unused:UNUSED_PAD src0_sel:WORD_1 src1_sel:DWORD
	v_add_f16_e32 v38, v43, v118
	v_add_f16_sdwa v44, v43, v123 dst_sel:DWORD dst_unused:UNUSED_PAD src0_sel:WORD_1 src1_sel:DWORD
	v_add_f16_e32 v45, v43, v128
	v_fmamk_f16 v97, v28, 0x3beb, v53
	v_fmamk_f16 v107, v28, 0xbb47, v69
	;; [unrolled: 1-line block ×6, first 2 shown]
	v_fmac_f16_e32 v53, 0xbbeb, v28
	v_fmac_f16_e32 v69, 0x3b47, v28
	;; [unrolled: 1-line block ×5, first 2 shown]
	v_fma_f16 v28, v47, 0xbbad, -v48
	v_add_f16_sdwa v46, v43, v133 dst_sel:DWORD dst_unused:UNUSED_PAD src0_sel:WORD_1 src1_sel:DWORD
	v_add_f16_sdwa v48, v43, v65 dst_sel:DWORD dst_unused:UNUSED_PAD src0_sel:WORD_1 src1_sel:DWORD
	v_add_f16_e32 v49, v43, v61
	v_fmamk_f16 v132, v47, 0x3abb, v94
	v_fma_f16 v92, v47, 0x3abb, -v94
	v_add_f16_e32 v47, v43, v138
	v_add_f16_sdwa v59, v43, v75 dst_sel:DWORD dst_unused:UNUSED_PAD src0_sel:WORD_1 src1_sel:DWORD
	v_add_f16_e32 v61, v43, v73
	v_add_f16_sdwa v65, v43, v85 dst_sel:DWORD dst_unused:UNUSED_PAD src0_sel:WORD_1 src1_sel:DWORD
	v_add_f16_e32 v73, v43, v83
	v_add_f16_e32 v7, v50, v19
	;; [unrolled: 1-line block ×89, first 2 shown]
	v_pack_b32_f16 v2, v3, v2
	v_add_f16_e32 v3, v27, v36
	v_add_f16_e32 v0, v0, v33
	;; [unrolled: 1-line block ×3, first 2 shown]
	v_pack_b32_f16 v28, v30, v29
	v_pack_b32_f16 v25, v26, v25
	;; [unrolled: 1-line block ×10, first 2 shown]
	ds_write2_b32 v31, v28, v25 offset0:4 offset1:6
	ds_write2_b32 v31, v23, v21 offset0:8 offset1:10
	ds_write2_b32 v31, v2, v6 offset0:12 offset1:14
	ds_write2_b32 v31, v7, v19 offset0:16 offset1:18
	ds_write2_b32 v31, v0, v1 offset1:2
	ds_write_b32 v31, v4 offset:80
.LBB0_16:
	s_or_b32 exec_lo, exec_lo, s1
	v_lshrrev_b16 v0, 1, v8
	v_lshrrev_b16 v1, 1, v18
	v_mov_b32_e32 v2, 6
	s_waitcnt lgkmcnt(0)
	s_barrier
	v_and_b32_e32 v0, 0x7f, v0
	buffer_gl0_inv
	v_lshlrev_b32_e32 v37, 2, v12
	v_add_nc_u32_e32 v4, 0x800, v9
	v_add_nc_u32_e32 v3, 0xa00, v9
	v_mul_lo_u16 v0, 0xbb, v0
	v_add_nc_u32_e32 v7, 0xc00, v9
	v_add_nc_u32_e32 v6, 0x300, v9
	v_mul_u32_u24_e32 v39, 6, v8
	v_mov_b32_e32 v54, 2
	v_lshrrev_b16 v43, 11, v0
	v_and_b32_e32 v0, 0x7f, v1
	s_add_u32 s1, s8, 0x10d0
	v_lshlrev_b32_e32 v55, 2, v39
	s_addc_u32 s4, s9, 0
	v_mul_lo_u16 v1, v43, 22
	v_mul_lo_u16 v0, 0xbb, v0
	s_mov_b32 s5, exec_lo
	v_sub_nc_u16 v44, v8, v1
	v_lshrrev_b16 v45, 11, v0
	v_mul_u32_u24_sdwa v0, v44, v2 dst_sel:DWORD dst_unused:UNUSED_PAD src0_sel:BYTE_0 src1_sel:DWORD
	v_mul_lo_u16 v1, v45, 22
	v_lshlrev_b32_sdwa v44, v54, v44 dst_sel:DWORD dst_unused:UNUSED_PAD src0_sel:DWORD src1_sel:BYTE_0
	v_lshlrev_b32_e32 v0, 2, v0
	v_sub_nc_u16 v46, v18, v1
	global_load_dwordx4 v[19:22], v0, s[8:9] offset:80
	v_mul_u32_u24_sdwa v1, v46, v2 dst_sel:DWORD dst_unused:UNUSED_PAD src0_sel:BYTE_0 src1_sel:DWORD
	v_add3_u32 v2, 0, v17, v15
	v_add3_u32 v17, 0, v37, v15
	v_lshlrev_b32_sdwa v46, v54, v46 dst_sel:DWORD dst_unused:UNUSED_PAD src0_sel:DWORD src1_sel:BYTE_0
	v_lshlrev_b32_e32 v1, 2, v1
	s_clause 0x2
	global_load_dwordx2 v[27:28], v0, s[8:9] offset:96
	global_load_dwordx4 v[23:26], v1, s[8:9] offset:80
	global_load_dwordx2 v[29:30], v1, s[8:9] offset:96
	v_lshlrev_b32_e32 v0, 2, v16
	v_lshlrev_b32_e32 v1, 2, v14
	ds_read2_b32 v[31:32], v3 offset0:53 offset1:130
	ds_read2_b32 v[33:34], v7 offset0:79 offset1:156
	;; [unrolled: 1-line block ×4, first 2 shown]
	v_add3_u32 v47, 0, v0, v15
	v_add3_u32 v5, 0, v1, v15
	v_mul_i32_i24_e32 v0, 6, v18
	ds_read_b32 v48, v5
	ds_read_b32 v49, v17
	;; [unrolled: 1-line block ×3, first 2 shown]
	ds_read_b32 v51, v9 offset:4004
	ds_read_b32 v52, v47
	ds_read_b32 v53, v41
	v_mov_b32_e32 v1, 0
	s_waitcnt vmcnt(0) lgkmcnt(0)
	s_barrier
	buffer_gl0_inv
	v_lshlrev_b64 v[39:40], 2, v[0:1]
	v_and_b32_e32 v0, 0xffff, v43
	v_and_b32_e32 v43, 0xffff, v45
	v_lshrrev_b32_e32 v45, 16, v32
	v_lshrrev_b32_e32 v56, 16, v34
	v_lshrrev_b32_e32 v57, 16, v35
	v_mad_u32_u24 v0, 0x268, v0, 0
	v_mad_u32_u24 v43, 0x268, v43, 0
	v_lshrrev_b32_e32 v58, 16, v36
	v_lshrrev_b32_e32 v59, 16, v37
	;; [unrolled: 1-line block ×9, first 2 shown]
	v_add3_u32 v0, v0, v44, v15
	v_add3_u32 v15, v43, v46, v15
	v_mul_f16_sdwa v43, v19, v54 dst_sel:DWORD dst_unused:UNUSED_PAD src0_sel:WORD_1 src1_sel:DWORD
	v_mul_f16_sdwa v44, v19, v52 dst_sel:DWORD dst_unused:UNUSED_PAD src0_sel:WORD_1 src1_sel:DWORD
	;; [unrolled: 1-line block ×8, first 2 shown]
	v_mul_f16_sdwa v71, v45, v27 dst_sel:DWORD dst_unused:UNUSED_PAD src0_sel:DWORD src1_sel:WORD_1
	v_mul_f16_sdwa v72, v32, v27 dst_sel:DWORD dst_unused:UNUSED_PAD src0_sel:DWORD src1_sel:WORD_1
	;; [unrolled: 1-line block ×16, first 2 shown]
	v_fmac_f16_e32 v43, v19, v52
	v_fma_f16 v19, v19, v54, -v44
	v_fmac_f16_e32 v46, v20, v48
	v_fma_f16 v20, v20, v64, -v66
	;; [unrolled: 2-line block ×12, first 2 shown]
	v_add_f16_e32 v31, v43, v73
	v_add_f16_e32 v32, v19, v28
	v_sub_f16_e32 v19, v19, v28
	v_add_f16_e32 v28, v46, v71
	v_add_f16_e32 v34, v20, v27
	v_sub_f16_e32 v33, v43, v73
	v_sub_f16_e32 v35, v46, v71
	;; [unrolled: 1-line block ×3, first 2 shown]
	v_add_f16_e32 v27, v67, v69
	v_add_f16_e32 v36, v21, v22
	v_sub_f16_e32 v37, v69, v67
	v_sub_f16_e32 v21, v22, v21
	v_add_f16_e32 v22, v75, v85
	v_add_f16_e32 v38, v23, v30
	v_sub_f16_e32 v23, v23, v30
	v_add_f16_e32 v30, v77, v83
	v_add_f16_e32 v44, v24, v29
	;; [unrolled: 1-line block ×3, first 2 shown]
	v_sub_f16_e32 v25, v26, v25
	v_add_f16_e32 v26, v28, v31
	v_add_f16_e32 v49, v34, v32
	v_sub_f16_e32 v43, v75, v85
	v_sub_f16_e32 v45, v77, v83
	;; [unrolled: 1-line block ×3, first 2 shown]
	v_add_f16_e32 v29, v79, v81
	v_sub_f16_e32 v48, v81, v79
	v_sub_f16_e32 v51, v28, v31
	;; [unrolled: 1-line block ×7, first 2 shown]
	v_add_f16_e32 v54, v37, v35
	v_add_f16_e32 v56, v21, v20
	v_sub_f16_e32 v57, v37, v35
	v_sub_f16_e32 v58, v21, v20
	;; [unrolled: 1-line block ×4, first 2 shown]
	v_add_f16_e32 v59, v30, v22
	v_add_f16_e32 v60, v44, v38
	v_sub_f16_e32 v62, v44, v38
	v_sub_f16_e32 v44, v46, v44
	v_add_f16_e32 v26, v27, v26
	v_add_f16_e32 v27, v36, v49
	v_sub_f16_e32 v37, v33, v37
	v_sub_f16_e32 v21, v19, v21
	;; [unrolled: 1-line block ×6, first 2 shown]
	v_add_f16_e32 v63, v48, v45
	v_add_f16_e32 v64, v25, v24
	v_sub_f16_e32 v65, v48, v45
	v_sub_f16_e32 v66, v25, v24
	;; [unrolled: 1-line block ×4, first 2 shown]
	v_add_f16_e32 v33, v54, v33
	v_add_f16_e32 v19, v56, v19
	v_mul_f16_e32 v31, 0x3a52, v31
	v_mul_f16_e32 v32, 0x3a52, v32
	;; [unrolled: 1-line block ×8, first 2 shown]
	v_add_f16_e32 v29, v29, v59
	v_add_f16_e32 v46, v46, v60
	v_mul_f16_e32 v60, 0x2b26, v44
	v_add_f16_e32 v67, v26, v53
	v_add_f16_sdwa v53, v27, v53 dst_sel:DWORD dst_unused:UNUSED_PAD src0_sel:DWORD src1_sel:WORD_1
	v_sub_f16_e32 v48, v43, v48
	v_sub_f16_e32 v25, v23, v25
	v_add_f16_e32 v43, v63, v43
	v_add_f16_e32 v23, v64, v23
	v_mul_f16_e32 v22, 0x3a52, v22
	v_mul_f16_e32 v38, 0x3a52, v38
	;; [unrolled: 1-line block ×7, first 2 shown]
	v_fmamk_f16 v28, v28, 0x2b26, v31
	v_fmamk_f16 v34, v34, 0x2b26, v32
	v_fma_f16 v36, v51, 0x39e0, -v36
	v_fma_f16 v49, v52, 0x39e0, -v49
	;; [unrolled: 1-line block ×4, first 2 shown]
	v_fmamk_f16 v51, v37, 0xb574, v54
	v_fmamk_f16 v52, v21, 0xb574, v56
	v_fma_f16 v35, v35, 0xbb00, -v54
	v_fma_f16 v20, v20, 0xbb00, -v56
	;; [unrolled: 1-line block ×4, first 2 shown]
	v_add_f16_e32 v54, v29, v50
	v_add_f16_sdwa v50, v46, v50 dst_sel:DWORD dst_unused:UNUSED_PAD src0_sel:DWORD src1_sel:WORD_1
	v_fma_f16 v57, v62, 0x39e0, -v60
	v_lshlrev_b32_e32 v60, 16, v53
	v_fmamk_f16 v30, v30, 0x2b26, v22
	v_fmamk_f16 v44, v44, 0x2b26, v38
	v_fma_f16 v56, v61, 0x39e0, -v59
	v_fma_f16 v22, v61, 0xb9e0, -v22
	;; [unrolled: 1-line block ×3, first 2 shown]
	v_fmamk_f16 v58, v48, 0xb574, v63
	v_fmamk_f16 v59, v25, 0xb574, v64
	v_fma_f16 v45, v45, 0xbb00, -v63
	v_fma_f16 v48, v48, 0x3574, -v65
	;; [unrolled: 1-line block ×3, first 2 shown]
	v_fmac_f16_e32 v53, 0xbcab, v27
	v_fmac_f16_e32 v52, 0xb70e, v19
	;; [unrolled: 1-line block ×4, first 2 shown]
	v_fmamk_f16 v19, v29, 0xbcab, v54
	v_fmamk_f16 v27, v46, 0xbcab, v50
	v_or_b32_sdwa v29, v60, v67 dst_sel:DWORD dst_unused:UNUSED_PAD src0_sel:DWORD src1_sel:WORD_0
	v_fmac_f16_e32 v67, 0xbcab, v26
	v_fma_f16 v24, v24, 0xbb00, -v64
	v_fmac_f16_e32 v51, 0xb70e, v33
	v_fmac_f16_e32 v35, 0xb70e, v33
	;; [unrolled: 1-line block ×8, first 2 shown]
	v_add_f16_e32 v26, v34, v53
	v_add_f16_e32 v33, v49, v53
	;; [unrolled: 1-line block ×10, first 2 shown]
	v_fmac_f16_e32 v24, 0xb70e, v23
	v_add_f16_e32 v28, v36, v67
	v_add_f16_e32 v31, v31, v67
	v_pack_b32_f16 v23, v54, v50
	v_sub_f16_e32 v36, v26, v51
	v_sub_f16_e32 v38, v32, v37
	v_add_f16_e32 v46, v35, v33
	v_sub_f16_e32 v33, v33, v35
	v_add_f16_e32 v32, v37, v32
	v_add_f16_e32 v35, v59, v30
	v_sub_f16_e32 v37, v34, v58
	v_add_f16_e32 v49, v25, v19
	v_sub_f16_e32 v50, v22, v48
	v_sub_f16_e32 v19, v19, v25
	v_add_f16_e32 v22, v48, v22
	v_sub_f16_e32 v25, v30, v59
	v_add_f16_e32 v30, v58, v34
	v_add_f16_e32 v34, v52, v27
	;; [unrolled: 1-line block ×3, first 2 shown]
	v_sub_f16_e32 v51, v43, v24
	v_add_f16_e32 v53, v45, v44
	v_add_f16_e32 v24, v24, v43
	v_sub_f16_e32 v43, v44, v45
	v_add_f16_e32 v44, v21, v31
	v_sub_f16_e32 v45, v28, v20
	;; [unrolled: 2-line block ×3, first 2 shown]
	v_sub_f16_e32 v27, v27, v52
	v_pack_b32_f16 v19, v19, v22
	v_pack_b32_f16 v22, v34, v36
	;; [unrolled: 1-line block ×7, first 2 shown]
	v_add_co_u32 v27, s0, s8, v39
	v_pack_b32_f16 v28, v35, v37
	v_pack_b32_f16 v31, v49, v50
	v_pack_b32_f16 v35, v51, v53
	v_pack_b32_f16 v24, v24, v43
	v_pack_b32_f16 v25, v25, v30
	ds_write2_b32 v0, v29, v22 offset1:22
	ds_write2_b32 v0, v34, v36 offset0:44 offset1:66
	ds_write2_b32 v0, v20, v21 offset0:88 offset1:110
	ds_write_b32 v0, v26 offset:528
	ds_write2_b32 v15, v23, v28 offset1:22
	ds_write2_b32 v15, v31, v35 offset0:44 offset1:66
	ds_write2_b32 v15, v24, v19 offset0:88 offset1:110
	ds_write_b32 v15, v25 offset:528
	v_add_co_ci_u32_e64 v28, s0, s9, v40, s0
	s_waitcnt lgkmcnt(0)
	s_barrier
	buffer_gl0_inv
	s_clause 0x3
	global_load_dwordx4 v[19:22], v55, s[8:9] offset:608
	global_load_dwordx2 v[29:30], v55, s[8:9] offset:624
	global_load_dwordx4 v[23:26], v[27:28], off offset:608
	global_load_dwordx2 v[27:28], v[27:28], off offset:624
	ds_read2_b32 v[31:32], v4 offset0:27 offset1:104
	ds_read2_b32 v[33:34], v7 offset0:79 offset1:156
	;; [unrolled: 1-line block ×4, first 2 shown]
	ds_read_b32 v0, v5
	ds_read_b32 v5, v17
	;; [unrolled: 1-line block ×3, first 2 shown]
	ds_read_b32 v17, v9 offset:4004
	ds_read_b32 v35, v47
	ds_read_b32 v36, v41
	v_add_nc_u32_e32 v37, 0x400, v9
	v_add_nc_u32_e32 v38, 0x900, v9
	;; [unrolled: 1-line block ×4, first 2 shown]
	s_waitcnt vmcnt(0) lgkmcnt(0)
	s_barrier
	buffer_gl0_inv
	v_lshrrev_b32_e32 v46, 16, v31
	v_lshrrev_b32_e32 v43, 16, v34
	;; [unrolled: 1-line block ×12, first 2 shown]
	v_mul_f16_sdwa v63, v29, v54 dst_sel:DWORD dst_unused:UNUSED_PAD src0_sel:WORD_1 src1_sel:DWORD
	v_mul_f16_sdwa v55, v19, v50 dst_sel:DWORD dst_unused:UNUSED_PAD src0_sel:WORD_1 src1_sel:DWORD
	;; [unrolled: 1-line block ×8, first 2 shown]
	v_mul_f16_sdwa v65, v43, v30 dst_sel:DWORD dst_unused:UNUSED_PAD src0_sel:DWORD src1_sel:WORD_1
	v_mul_f16_sdwa v66, v34, v30 dst_sel:DWORD dst_unused:UNUSED_PAD src0_sel:DWORD src1_sel:WORD_1
	v_mul_f16_sdwa v61, v22, v53 dst_sel:DWORD dst_unused:UNUSED_PAD src0_sel:WORD_1 src1_sel:DWORD
	v_mul_f16_sdwa v62, v22, v32 dst_sel:DWORD dst_unused:UNUSED_PAD src0_sel:WORD_1 src1_sel:DWORD
	v_mul_f16_sdwa v67, v44, v23 dst_sel:DWORD dst_unused:UNUSED_PAD src0_sel:DWORD src1_sel:WORD_1
	v_mul_f16_sdwa v68, v6, v23 dst_sel:DWORD dst_unused:UNUSED_PAD src0_sel:DWORD src1_sel:WORD_1
	;; [unrolled: 1-line block ×12, first 2 shown]
	v_fmac_f16_e32 v55, v19, v35
	v_fma_f16 v19, v19, v50, -v56
	v_fmac_f16_e32 v57, v20, v0
	v_fma_f16 v0, v20, v51, -v58
	;; [unrolled: 2-line block ×12, first 2 shown]
	v_add_f16_e32 v24, v55, v65
	v_add_f16_e32 v25, v19, v21
	v_sub_f16_e32 v19, v19, v21
	v_add_f16_e32 v21, v57, v63
	v_add_f16_e32 v27, v0, v4
	v_sub_f16_e32 v26, v55, v65
	v_sub_f16_e32 v28, v57, v63
	;; [unrolled: 1-line block ×3, first 2 shown]
	v_add_f16_e32 v4, v59, v61
	v_add_f16_e32 v29, v5, v20
	v_sub_f16_e32 v30, v61, v59
	v_sub_f16_e32 v5, v20, v5
	v_add_f16_e32 v20, v67, v77
	v_add_f16_e32 v31, v6, v17
	v_sub_f16_e32 v6, v6, v17
	v_add_f16_e32 v17, v69, v75
	v_add_f16_e32 v33, v7, v23
	;; [unrolled: 3-line block ×4, first 2 shown]
	v_sub_f16_e32 v32, v67, v77
	v_sub_f16_e32 v34, v69, v75
	;; [unrolled: 1-line block ×9, first 2 shown]
	v_add_f16_e32 v47, v30, v28
	v_add_f16_e32 v48, v5, v0
	v_sub_f16_e32 v49, v30, v28
	v_sub_f16_e32 v50, v5, v0
	;; [unrolled: 1-line block ×4, first 2 shown]
	v_add_f16_e32 v51, v17, v20
	v_add_f16_e32 v52, v33, v31
	v_sub_f16_e32 v53, v17, v20
	v_sub_f16_e32 v54, v33, v31
	;; [unrolled: 1-line block ×4, first 2 shown]
	v_add_f16_e32 v56, v3, v7
	v_sub_f16_e32 v58, v3, v7
	v_sub_f16_e32 v7, v7, v6
	v_add_f16_e32 v4, v4, v22
	v_add_f16_e32 v22, v29, v44
	v_sub_f16_e32 v30, v26, v30
	v_sub_f16_e32 v5, v19, v5
	;; [unrolled: 1-line block ×4, first 2 shown]
	v_add_f16_e32 v55, v43, v34
	v_sub_f16_e32 v57, v43, v34
	v_sub_f16_e32 v3, v6, v3
	;; [unrolled: 1-line block ×3, first 2 shown]
	v_add_f16_e32 v26, v47, v26
	v_add_f16_e32 v19, v48, v19
	v_mul_f16_e32 v24, 0x3a52, v24
	v_mul_f16_e32 v25, 0x3a52, v25
	;; [unrolled: 1-line block ×8, first 2 shown]
	v_add_f16_e32 v23, v23, v51
	v_add_f16_e32 v35, v35, v52
	;; [unrolled: 1-line block ×3, first 2 shown]
	v_mul_f16_e32 v51, 0x2b26, v17
	v_mul_f16_e32 v52, 0x2b26, v33
	;; [unrolled: 1-line block ×4, first 2 shown]
	v_add_f16_e32 v59, v4, v36
	v_add_f16_sdwa v36, v22, v36 dst_sel:DWORD dst_unused:UNUSED_PAD src0_sel:DWORD src1_sel:WORD_1
	v_sub_f16_e32 v43, v32, v43
	v_add_f16_e32 v32, v55, v32
	v_mul_f16_e32 v20, 0x3a52, v20
	v_mul_f16_e32 v31, 0x3a52, v31
	;; [unrolled: 1-line block ×4, first 2 shown]
	v_fmamk_f16 v21, v21, 0x2b26, v24
	v_fmamk_f16 v27, v27, 0x2b26, v25
	v_fma_f16 v29, v45, 0x39e0, -v29
	v_fma_f16 v44, v46, 0x39e0, -v44
	;; [unrolled: 1-line block ×4, first 2 shown]
	v_fmamk_f16 v45, v30, 0xb574, v47
	v_fmamk_f16 v46, v5, 0xb574, v48
	v_fma_f16 v28, v28, 0xbb00, -v47
	v_fma_f16 v0, v0, 0xbb00, -v48
	;; [unrolled: 1-line block ×4, first 2 shown]
	v_add_f16_e32 v47, v23, v15
	v_add_f16_sdwa v15, v35, v15 dst_sel:DWORD dst_unused:UNUSED_PAD src0_sel:DWORD src1_sel:WORD_1
	v_fma_f16 v48, v53, 0x39e0, -v51
	v_fma_f16 v49, v54, 0x39e0, -v52
	v_fmamk_f16 v51, v3, 0xb574, v56
	v_fma_f16 v7, v7, 0xbb00, -v56
	v_fma_f16 v3, v3, 0x3574, -v58
	v_lshlrev_b32_e32 v52, 16, v36
	v_fmamk_f16 v17, v17, 0x2b26, v20
	v_fmamk_f16 v33, v33, 0x2b26, v31
	v_fma_f16 v20, v53, 0xb9e0, -v20
	v_fma_f16 v31, v54, 0xb9e0, -v31
	v_fmamk_f16 v50, v43, 0xb574, v55
	v_fma_f16 v43, v43, 0x3574, -v57
	v_fmac_f16_e32 v36, 0xbcab, v22
	v_fmac_f16_e32 v46, 0xb70e, v19
	;; [unrolled: 1-line block ×4, first 2 shown]
	v_fmamk_f16 v19, v23, 0xbcab, v47
	v_fmamk_f16 v22, v35, 0xbcab, v15
	v_fmac_f16_e32 v51, 0xb70e, v6
	v_fmac_f16_e32 v7, 0xb70e, v6
	;; [unrolled: 1-line block ×3, first 2 shown]
	v_pack_b32_f16 v6, v47, v15
	v_or_b32_sdwa v15, v52, v59 dst_sel:DWORD dst_unused:UNUSED_PAD src0_sel:DWORD src1_sel:WORD_0
	v_fmac_f16_e32 v59, 0xbcab, v4
	v_fma_f16 v34, v34, 0xbb00, -v55
	v_fmac_f16_e32 v45, 0xb70e, v26
	v_fmac_f16_e32 v28, 0xb70e, v26
	;; [unrolled: 1-line block ×5, first 2 shown]
	v_add_f16_e32 v4, v27, v36
	v_add_f16_e32 v25, v25, v36
	;; [unrolled: 1-line block ×8, first 2 shown]
	v_fmac_f16_e32 v34, 0xb70e, v32
	v_add_f16_e32 v23, v44, v36
	v_add_f16_e32 v32, v49, v22
	;; [unrolled: 1-line block ×4, first 2 shown]
	v_sub_f16_e32 v29, v4, v45
	v_sub_f16_e32 v31, v25, v30
	v_add_f16_e32 v25, v30, v25
	v_sub_f16_e32 v30, v26, v50
	v_add_f16_e32 v35, v3, v19
	v_sub_f16_e32 v36, v20, v43
	v_sub_f16_e32 v3, v19, v3
	v_add_f16_e32 v19, v43, v20
	v_add_f16_e32 v20, v50, v26
	v_add_f16_e32 v26, v46, v21
	v_add_f16_e32 v33, v28, v23
	v_add_f16_e32 v4, v45, v4
	v_sub_f16_e32 v44, v27, v7
	v_add_f16_e32 v45, v34, v32
	v_add_f16_e32 v7, v7, v27
	v_sub_f16_e32 v27, v32, v34
	v_add_f16_e32 v32, v5, v24
	v_sub_f16_e32 v34, v22, v0
	v_sub_f16_e32 v23, v23, v28
	v_add_f16_e32 v0, v0, v22
	v_sub_f16_e32 v5, v24, v5
	;; [unrolled: 3-line block ×3, first 2 shown]
	v_pack_b32_f16 v3, v3, v19
	v_pack_b32_f16 v19, v26, v29
	;; [unrolled: 1-line block ×12, first 2 shown]
	ds_write2_b32 v9, v15, v19 offset1:154
	ds_write2_b32 v37, v26, v27 offset0:52 offset1:206
	ds_write2_b32 v38, v0, v5 offset0:40 offset1:194
	ds_write_b32 v9, v4 offset:3696
	ds_write2_b32 v2, v6, v22 offset1:154
	ds_write2_b32 v39, v24, v28 offset0:52 offset1:206
	ds_write2_b32 v40, v7, v3 offset0:40 offset1:194
	ds_write_b32 v2, v17 offset:3696
	s_waitcnt lgkmcnt(0)
	s_barrier
	buffer_gl0_inv
	ds_read_b32 v0, v41
	v_sub_nc_u32_e32 v4, v42, v13
                                        ; implicit-def: $vgpr6
                                        ; implicit-def: $vgpr5
                                        ; implicit-def: $vgpr2_vgpr3
	v_cmpx_ne_u32_e32 0, v8
	s_xor_b32 s5, exec_lo, s5
	s_cbranch_execz .LBB0_18
; %bb.17:
	v_mov_b32_e32 v9, v1
	v_lshlrev_b64 v[1:2], 2, v[8:9]
	v_add_co_u32 v1, s0, s1, v1
	v_add_co_ci_u32_e64 v2, s0, s4, v2, s0
	global_load_dword v1, v[1:2], off
	ds_read_b32 v2, v4 offset:4312
	s_waitcnt lgkmcnt(0)
	v_sub_f16_e32 v3, v0, v2
	v_add_f16_sdwa v5, v2, v0 dst_sel:DWORD dst_unused:UNUSED_PAD src0_sel:WORD_1 src1_sel:WORD_1
	v_sub_f16_sdwa v6, v0, v2 dst_sel:DWORD dst_unused:UNUSED_PAD src0_sel:WORD_1 src1_sel:WORD_1
	v_add_f16_e32 v0, v2, v0
	v_mul_f16_e32 v3, 0.5, v3
	v_mul_f16_e32 v13, 0.5, v5
	;; [unrolled: 1-line block ×3, first 2 shown]
	s_waitcnt vmcnt(0)
	v_lshrrev_b32_e32 v7, 16, v1
	v_mul_f16_e32 v2, v7, v3
	v_fma_f16 v6, v13, v7, v5
	v_fma_f16 v7, v13, v7, -v5
	v_fma_f16 v5, 0.5, v0, v2
	v_fma_f16 v0, v0, 0.5, -v2
	v_fma_f16 v15, -v1, v3, v6
	v_fma_f16 v7, -v1, v3, v7
	v_mov_b32_e32 v2, v8
	v_fmac_f16_e32 v5, v1, v13
	v_fma_f16 v6, -v1, v13, v0
	v_mov_b32_e32 v3, v9
	ds_write_b16 v41, v15 offset:2
	ds_write_b16 v4, v7 offset:4314
                                        ; implicit-def: $vgpr0
.LBB0_18:
	s_andn2_saveexec_b32 s0, s5
	s_cbranch_execz .LBB0_20
; %bb.19:
	v_mov_b32_e32 v1, 0
	v_mov_b32_e32 v2, 0
	s_waitcnt lgkmcnt(0)
	v_add_f16_sdwa v5, v0, v0 dst_sel:DWORD dst_unused:UNUSED_PAD src0_sel:WORD_1 src1_sel:DWORD
	v_mov_b32_e32 v3, 0
	v_sub_f16_sdwa v6, v0, v0 dst_sel:DWORD dst_unused:UNUSED_PAD src0_sel:DWORD src1_sel:WORD_1
	ds_write_b16 v41, v1 offset:2
	ds_write_b16 v4, v1 offset:4314
	ds_read_u16 v1, v42 offset:2158
	s_waitcnt lgkmcnt(0)
	v_xor_b32_e32 v1, 0x8000, v1
	ds_write_b16 v42, v1 offset:2158
.LBB0_20:
	s_or_b32 exec_lo, exec_lo, s0
	v_mov_b32_e32 v19, 0
	s_waitcnt lgkmcnt(0)
	v_lshlrev_b64 v[0:1], 2, v[18:19]
	v_mov_b32_e32 v17, v19
	v_mov_b32_e32 v15, v19
	;; [unrolled: 1-line block ×3, first 2 shown]
	v_add_co_u32 v0, s0, s1, v0
	v_add_co_ci_u32_e64 v1, s0, s4, v1, s0
	v_lshlrev_b64 v[20:21], 2, v[14:15]
	global_load_dword v7, v[0:1], off
	v_lshlrev_b64 v[0:1], 2, v[16:17]
	v_add_co_u32 v0, s0, s1, v0
	v_add_co_ci_u32_e64 v1, s0, s4, v1, s0
	global_load_dword v9, v[0:1], off
	v_lshlrev_b64 v[0:1], 2, v[2:3]
	v_add_co_u32 v2, s0, s1, v0
	v_add_co_ci_u32_e64 v3, s0, s4, v1, s0
	v_add_co_u32 v20, s0, s1, v20
	v_add_co_ci_u32_e64 v21, s0, s4, v21, s0
	s_clause 0x1
	global_load_dword v17, v[2:3], off offset:924
	global_load_dword v15, v[20:21], off
	v_lshlrev_b64 v[19:20], 2, v[12:13]
	v_add_co_u32 v19, s0, s1, v19
	v_add_co_ci_u32_e64 v20, s0, s4, v20, s0
	s_clause 0x1
	global_load_dword v13, v[19:20], off
	global_load_dword v2, v[2:3], off offset:1540
	v_lshl_add_u32 v3, v18, 2, v42
	ds_write_b16 v41, v5
	ds_write_b16 v4, v6 offset:4312
	ds_read_b32 v5, v3
	ds_read_b32 v6, v4 offset:4004
	s_waitcnt lgkmcnt(0)
	v_pk_add_f16 v18, v5, v6 neg_lo:[0,1] neg_hi:[0,1]
	v_pk_add_f16 v5, v5, v6
	v_bfi_b32 v6, 0xffff, v18, v5
	v_bfi_b32 v5, 0xffff, v5, v18
	v_pk_mul_f16 v6, v6, 0.5 op_sel_hi:[1,0]
	v_pk_mul_f16 v5, v5, 0.5 op_sel_hi:[1,0]
	s_waitcnt vmcnt(5)
	v_pk_fma_f16 v18, v7, v6, v5 op_sel:[1,0,0]
	v_pk_mul_f16 v19, v7, v6 op_sel_hi:[0,1]
	v_pk_fma_f16 v20, v7, v6, v5 op_sel:[1,0,0] neg_lo:[1,0,0] neg_hi:[1,0,0]
	v_pk_fma_f16 v5, v7, v6, v5 op_sel:[1,0,0] neg_lo:[0,0,1] neg_hi:[0,0,1]
	v_pk_add_f16 v6, v18, v19 op_sel:[0,1] op_sel_hi:[1,0]
	v_pk_add_f16 v7, v18, v19 op_sel:[0,1] op_sel_hi:[1,0] neg_lo:[0,1] neg_hi:[0,1]
	v_pk_add_f16 v18, v20, v19 op_sel:[0,1] op_sel_hi:[1,0] neg_lo:[0,1] neg_hi:[0,1]
	;; [unrolled: 1-line block ×3, first 2 shown]
	v_bfi_b32 v6, 0xffff, v6, v7
	v_lshl_add_u32 v7, v16, 2, v42
	v_bfi_b32 v5, 0xffff, v18, v5
	ds_write_b32 v3, v6
	ds_write_b32 v4, v5 offset:4004
	ds_read_b32 v3, v7
	ds_read_b32 v5, v4 offset:3696
	s_waitcnt lgkmcnt(0)
	v_pk_add_f16 v6, v3, v5 neg_lo:[0,1] neg_hi:[0,1]
	v_pk_add_f16 v3, v3, v5
	v_bfi_b32 v5, 0xffff, v6, v3
	v_bfi_b32 v3, 0xffff, v3, v6
	v_pk_mul_f16 v5, v5, 0.5 op_sel_hi:[1,0]
	v_pk_mul_f16 v3, v3, 0.5 op_sel_hi:[1,0]
	s_waitcnt vmcnt(4)
	v_pk_mul_f16 v16, v9, v5 op_sel_hi:[0,1]
	v_pk_fma_f16 v6, v9, v5, v3 op_sel:[1,0,0]
	v_pk_fma_f16 v18, v9, v5, v3 op_sel:[1,0,0] neg_lo:[1,0,0] neg_hi:[1,0,0]
	v_pk_fma_f16 v3, v9, v5, v3 op_sel:[1,0,0] neg_lo:[0,0,1] neg_hi:[0,0,1]
	v_pk_add_f16 v5, v6, v16 op_sel:[0,1] op_sel_hi:[1,0]
	v_pk_add_f16 v6, v6, v16 op_sel:[0,1] op_sel_hi:[1,0] neg_lo:[0,1] neg_hi:[0,1]
	v_pk_add_f16 v9, v18, v16 op_sel:[0,1] op_sel_hi:[1,0] neg_lo:[0,1] neg_hi:[0,1]
	v_pk_add_f16 v3, v3, v16 op_sel:[0,1] op_sel_hi:[1,0] neg_lo:[0,1] neg_hi:[0,1]
	v_bfi_b32 v5, 0xffff, v5, v6
	v_bfi_b32 v3, 0xffff, v9, v3
	ds_write_b32 v7, v5
	ds_write_b32 v4, v3 offset:3696
	ds_read_b32 v3, v41 offset:924
	ds_read_b32 v5, v4 offset:3388
	s_waitcnt lgkmcnt(0)
	v_pk_add_f16 v6, v3, v5 neg_lo:[0,1] neg_hi:[0,1]
	v_pk_add_f16 v3, v3, v5
	v_bfi_b32 v5, 0xffff, v6, v3
	v_bfi_b32 v3, 0xffff, v3, v6
	v_pk_mul_f16 v5, v5, 0.5 op_sel_hi:[1,0]
	v_pk_mul_f16 v7, v3, 0.5 op_sel_hi:[1,0]
	s_waitcnt vmcnt(3)
	v_pk_mul_f16 v6, v17, v5 op_sel:[1,0]
	v_pk_mul_f16 v5, v17, v5 op_sel_hi:[0,1]
	v_pk_fma_f16 v3, v3, 0.5, v6 op_sel_hi:[1,0,1]
	v_sub_f16_sdwa v9, v6, v7 dst_sel:DWORD dst_unused:UNUSED_PAD src0_sel:WORD_1 src1_sel:WORD_1
	v_sub_f16_e32 v6, v7, v6
	v_pk_add_f16 v16, v3, v5 op_sel:[0,1] op_sel_hi:[1,0]
	v_pk_add_f16 v3, v3, v5 op_sel:[0,1] op_sel_hi:[1,0] neg_lo:[0,1] neg_hi:[0,1]
	v_sub_f16_e32 v7, v9, v5
	v_sub_f16_sdwa v5, v6, v5 dst_sel:DWORD dst_unused:UNUSED_PAD src0_sel:DWORD src1_sel:WORD_1
	v_lshl_add_u32 v6, v14, 2, v42
	v_bfi_b32 v3, 0xffff, v16, v3
	ds_write_b16 v4, v7 offset:3390
	ds_write_b32 v41, v3 offset:924
	ds_write_b16 v4, v5 offset:3388
	ds_read_b32 v3, v6
	ds_read_b32 v5, v4 offset:3080
	s_waitcnt lgkmcnt(0)
	v_pk_add_f16 v7, v3, v5 neg_lo:[0,1] neg_hi:[0,1]
	v_pk_add_f16 v3, v3, v5
	v_bfi_b32 v5, 0xffff, v7, v3
	v_bfi_b32 v3, 0xffff, v3, v7
	v_pk_mul_f16 v5, v5, 0.5 op_sel_hi:[1,0]
	v_pk_mul_f16 v3, v3, 0.5 op_sel_hi:[1,0]
	s_waitcnt vmcnt(2)
	v_pk_mul_f16 v9, v15, v5 op_sel_hi:[0,1]
	v_pk_fma_f16 v7, v15, v5, v3 op_sel:[1,0,0]
	v_pk_fma_f16 v14, v15, v5, v3 op_sel:[1,0,0] neg_lo:[1,0,0] neg_hi:[1,0,0]
	v_pk_fma_f16 v3, v15, v5, v3 op_sel:[1,0,0] neg_lo:[0,0,1] neg_hi:[0,0,1]
	v_pk_add_f16 v5, v7, v9 op_sel:[0,1] op_sel_hi:[1,0]
	v_pk_add_f16 v7, v7, v9 op_sel:[0,1] op_sel_hi:[1,0] neg_lo:[0,1] neg_hi:[0,1]
	v_pk_add_f16 v14, v14, v9 op_sel:[0,1] op_sel_hi:[1,0] neg_lo:[0,1] neg_hi:[0,1]
	;; [unrolled: 1-line block ×3, first 2 shown]
	v_bfi_b32 v5, 0xffff, v5, v7
	v_bfi_b32 v3, 0xffff, v14, v3
	ds_write_b32 v6, v5
	ds_write_b32 v4, v3 offset:3080
	ds_read_b32 v3, v41 offset:1540
	ds_read_b32 v5, v4 offset:2772
	s_waitcnt lgkmcnt(0)
	v_pk_add_f16 v6, v3, v5 neg_lo:[0,1] neg_hi:[0,1]
	v_pk_add_f16 v3, v3, v5
	v_bfi_b32 v5, 0xffff, v6, v3
	v_bfi_b32 v3, 0xffff, v3, v6
	v_pk_mul_f16 v5, v5, 0.5 op_sel_hi:[1,0]
	v_pk_mul_f16 v7, v3, 0.5 op_sel_hi:[1,0]
	s_waitcnt vmcnt(0)
	v_pk_mul_f16 v6, v2, v5 op_sel:[1,0]
	v_pk_mul_f16 v2, v2, v5 op_sel_hi:[0,1]
	v_pk_fma_f16 v3, v3, 0.5, v6 op_sel_hi:[1,0,1]
	v_sub_f16_sdwa v5, v6, v7 dst_sel:DWORD dst_unused:UNUSED_PAD src0_sel:WORD_1 src1_sel:WORD_1
	v_sub_f16_e32 v6, v7, v6
	v_pk_add_f16 v9, v3, v2 op_sel:[0,1] op_sel_hi:[1,0]
	v_pk_add_f16 v3, v3, v2 op_sel:[0,1] op_sel_hi:[1,0] neg_lo:[0,1] neg_hi:[0,1]
	v_sub_f16_e32 v5, v5, v2
	v_sub_f16_sdwa v2, v6, v2 dst_sel:DWORD dst_unused:UNUSED_PAD src0_sel:DWORD src1_sel:WORD_1
	v_lshl_add_u32 v6, v12, 2, v42
	v_bfi_b32 v3, 0xffff, v9, v3
	ds_write_b16 v4, v5 offset:2774
	ds_write_b32 v41, v3 offset:1540
	ds_write_b16 v4, v2 offset:2772
	ds_read_b32 v2, v6
	ds_read_b32 v3, v4 offset:2464
	s_waitcnt lgkmcnt(0)
	v_pk_add_f16 v5, v2, v3 neg_lo:[0,1] neg_hi:[0,1]
	v_pk_add_f16 v2, v2, v3
	v_bfi_b32 v3, 0xffff, v5, v2
	v_bfi_b32 v2, 0xffff, v2, v5
	v_pk_mul_f16 v3, v3, 0.5 op_sel_hi:[1,0]
	v_pk_mul_f16 v2, v2, 0.5 op_sel_hi:[1,0]
	v_pk_mul_f16 v7, v13, v3 op_sel_hi:[0,1]
	v_pk_fma_f16 v5, v13, v3, v2 op_sel:[1,0,0]
	v_pk_fma_f16 v9, v13, v3, v2 op_sel:[1,0,0] neg_lo:[1,0,0] neg_hi:[1,0,0]
	v_pk_fma_f16 v2, v13, v3, v2 op_sel:[1,0,0] neg_lo:[0,0,1] neg_hi:[0,0,1]
	v_pk_add_f16 v3, v5, v7 op_sel:[0,1] op_sel_hi:[1,0]
	v_pk_add_f16 v5, v5, v7 op_sel:[0,1] op_sel_hi:[1,0] neg_lo:[0,1] neg_hi:[0,1]
	v_pk_add_f16 v9, v9, v7 op_sel:[0,1] op_sel_hi:[1,0] neg_lo:[0,1] neg_hi:[0,1]
	;; [unrolled: 1-line block ×3, first 2 shown]
	v_bfi_b32 v3, 0xffff, v3, v5
	v_bfi_b32 v2, 0xffff, v9, v2
	ds_write_b32 v6, v3
	ds_write_b32 v4, v2 offset:2464
	s_waitcnt lgkmcnt(0)
	s_barrier
	buffer_gl0_inv
	s_and_saveexec_b32 s0, vcc_lo
	s_cbranch_execz .LBB0_23
; %bb.21:
	ds_read2_b32 v[4:5], v41 offset1:77
	ds_read2_b32 v[6:7], v41 offset0:154 offset1:231
	v_add_nc_u32_e32 v9, 0x400, v41
	v_add_nc_u32_e32 v17, 0xc00, v41
	;; [unrolled: 1-line block ×4, first 2 shown]
	v_add_co_u32 v2, vcc_lo, s2, v10
	v_add_co_ci_u32_e32 v3, vcc_lo, s3, v11, vcc_lo
	ds_read2_b32 v[9:10], v9 offset0:52 offset1:129
	ds_read2_b32 v[11:12], v12 offset0:78 offset1:155
	;; [unrolled: 1-line block ×5, first 2 shown]
	v_add_co_u32 v0, vcc_lo, v2, v0
	v_add_co_ci_u32_e32 v1, vcc_lo, v3, v1, vcc_lo
	s_waitcnt lgkmcnt(6)
	global_store_dword v[0:1], v4, off
	global_store_dword v[0:1], v5, off offset:308
	s_waitcnt lgkmcnt(5)
	global_store_dword v[0:1], v6, off offset:616
	v_add_co_u32 v4, vcc_lo, 0x800, v0
	v_add_co_ci_u32_e32 v5, vcc_lo, 0, v1, vcc_lo
	v_cmp_eq_u32_e32 vcc_lo, 0x4c, v8
	global_store_dword v[0:1], v7, off offset:924
	s_waitcnt lgkmcnt(4)
	global_store_dword v[0:1], v9, off offset:1232
	global_store_dword v[0:1], v10, off offset:1540
	s_waitcnt lgkmcnt(3)
	global_store_dword v[0:1], v11, off offset:1848
	;; [unrolled: 3-line block ×5, first 2 shown]
	global_store_dword v[4:5], v18, off offset:1956
	s_and_b32 exec_lo, exec_lo, vcc_lo
	s_cbranch_execz .LBB0_23
; %bb.22:
	ds_read_b32 v4, v41 offset:4008
	v_add_co_u32 v0, vcc_lo, 0x1000, v2
	v_add_co_ci_u32_e32 v1, vcc_lo, 0, v3, vcc_lo
	s_waitcnt lgkmcnt(0)
	global_store_dword v[0:1], v4, off offset:216
.LBB0_23:
	s_endpgm
	.section	.rodata,"a",@progbits
	.p2align	6, 0x0
	.amdhsa_kernel fft_rtc_back_len1078_factors_2_11_7_7_wgs_231_tpt_77_halfLds_half_ip_CI_unitstride_sbrr_R2C_dirReg
		.amdhsa_group_segment_fixed_size 0
		.amdhsa_private_segment_fixed_size 0
		.amdhsa_kernarg_size 88
		.amdhsa_user_sgpr_count 6
		.amdhsa_user_sgpr_private_segment_buffer 1
		.amdhsa_user_sgpr_dispatch_ptr 0
		.amdhsa_user_sgpr_queue_ptr 0
		.amdhsa_user_sgpr_kernarg_segment_ptr 1
		.amdhsa_user_sgpr_dispatch_id 0
		.amdhsa_user_sgpr_flat_scratch_init 0
		.amdhsa_user_sgpr_private_segment_size 0
		.amdhsa_wavefront_size32 1
		.amdhsa_uses_dynamic_stack 0
		.amdhsa_system_sgpr_private_segment_wavefront_offset 0
		.amdhsa_system_sgpr_workgroup_id_x 1
		.amdhsa_system_sgpr_workgroup_id_y 0
		.amdhsa_system_sgpr_workgroup_id_z 0
		.amdhsa_system_sgpr_workgroup_info 0
		.amdhsa_system_vgpr_workitem_id 0
		.amdhsa_next_free_vgpr 152
		.amdhsa_next_free_sgpr 21
		.amdhsa_reserve_vcc 1
		.amdhsa_reserve_flat_scratch 0
		.amdhsa_float_round_mode_32 0
		.amdhsa_float_round_mode_16_64 0
		.amdhsa_float_denorm_mode_32 3
		.amdhsa_float_denorm_mode_16_64 3
		.amdhsa_dx10_clamp 1
		.amdhsa_ieee_mode 1
		.amdhsa_fp16_overflow 0
		.amdhsa_workgroup_processor_mode 1
		.amdhsa_memory_ordered 1
		.amdhsa_forward_progress 0
		.amdhsa_shared_vgpr_count 0
		.amdhsa_exception_fp_ieee_invalid_op 0
		.amdhsa_exception_fp_denorm_src 0
		.amdhsa_exception_fp_ieee_div_zero 0
		.amdhsa_exception_fp_ieee_overflow 0
		.amdhsa_exception_fp_ieee_underflow 0
		.amdhsa_exception_fp_ieee_inexact 0
		.amdhsa_exception_int_div_zero 0
	.end_amdhsa_kernel
	.text
.Lfunc_end0:
	.size	fft_rtc_back_len1078_factors_2_11_7_7_wgs_231_tpt_77_halfLds_half_ip_CI_unitstride_sbrr_R2C_dirReg, .Lfunc_end0-fft_rtc_back_len1078_factors_2_11_7_7_wgs_231_tpt_77_halfLds_half_ip_CI_unitstride_sbrr_R2C_dirReg
                                        ; -- End function
	.section	.AMDGPU.csdata,"",@progbits
; Kernel info:
; codeLenInByte = 12748
; NumSgprs: 23
; NumVgprs: 152
; ScratchSize: 0
; MemoryBound: 0
; FloatMode: 240
; IeeeMode: 1
; LDSByteSize: 0 bytes/workgroup (compile time only)
; SGPRBlocks: 2
; VGPRBlocks: 18
; NumSGPRsForWavesPerEU: 23
; NumVGPRsForWavesPerEU: 152
; Occupancy: 6
; WaveLimiterHint : 1
; COMPUTE_PGM_RSRC2:SCRATCH_EN: 0
; COMPUTE_PGM_RSRC2:USER_SGPR: 6
; COMPUTE_PGM_RSRC2:TRAP_HANDLER: 0
; COMPUTE_PGM_RSRC2:TGID_X_EN: 1
; COMPUTE_PGM_RSRC2:TGID_Y_EN: 0
; COMPUTE_PGM_RSRC2:TGID_Z_EN: 0
; COMPUTE_PGM_RSRC2:TIDIG_COMP_CNT: 0
	.text
	.p2alignl 6, 3214868480
	.fill 48, 4, 3214868480
	.type	__hip_cuid_a74245e2c2441089,@object ; @__hip_cuid_a74245e2c2441089
	.section	.bss,"aw",@nobits
	.globl	__hip_cuid_a74245e2c2441089
__hip_cuid_a74245e2c2441089:
	.byte	0                               ; 0x0
	.size	__hip_cuid_a74245e2c2441089, 1

	.ident	"AMD clang version 19.0.0git (https://github.com/RadeonOpenCompute/llvm-project roc-6.4.0 25133 c7fe45cf4b819c5991fe208aaa96edf142730f1d)"
	.section	".note.GNU-stack","",@progbits
	.addrsig
	.addrsig_sym __hip_cuid_a74245e2c2441089
	.amdgpu_metadata
---
amdhsa.kernels:
  - .args:
      - .actual_access:  read_only
        .address_space:  global
        .offset:         0
        .size:           8
        .value_kind:     global_buffer
      - .offset:         8
        .size:           8
        .value_kind:     by_value
      - .actual_access:  read_only
        .address_space:  global
        .offset:         16
        .size:           8
        .value_kind:     global_buffer
      - .actual_access:  read_only
        .address_space:  global
        .offset:         24
        .size:           8
        .value_kind:     global_buffer
      - .offset:         32
        .size:           8
        .value_kind:     by_value
      - .actual_access:  read_only
        .address_space:  global
        .offset:         40
        .size:           8
        .value_kind:     global_buffer
      - .actual_access:  read_only
        .address_space:  global
        .offset:         48
        .size:           8
        .value_kind:     global_buffer
      - .offset:         56
        .size:           4
        .value_kind:     by_value
      - .actual_access:  read_only
        .address_space:  global
        .offset:         64
        .size:           8
        .value_kind:     global_buffer
      - .actual_access:  read_only
        .address_space:  global
        .offset:         72
        .size:           8
        .value_kind:     global_buffer
      - .address_space:  global
        .offset:         80
        .size:           8
        .value_kind:     global_buffer
    .group_segment_fixed_size: 0
    .kernarg_segment_align: 8
    .kernarg_segment_size: 88
    .language:       OpenCL C
    .language_version:
      - 2
      - 0
    .max_flat_workgroup_size: 231
    .name:           fft_rtc_back_len1078_factors_2_11_7_7_wgs_231_tpt_77_halfLds_half_ip_CI_unitstride_sbrr_R2C_dirReg
    .private_segment_fixed_size: 0
    .sgpr_count:     23
    .sgpr_spill_count: 0
    .symbol:         fft_rtc_back_len1078_factors_2_11_7_7_wgs_231_tpt_77_halfLds_half_ip_CI_unitstride_sbrr_R2C_dirReg.kd
    .uniform_work_group_size: 1
    .uses_dynamic_stack: false
    .vgpr_count:     152
    .vgpr_spill_count: 0
    .wavefront_size: 32
    .workgroup_processor_mode: 1
amdhsa.target:   amdgcn-amd-amdhsa--gfx1030
amdhsa.version:
  - 1
  - 2
...

	.end_amdgpu_metadata
